;; amdgpu-corpus repo=ROCm/rocFFT kind=compiled arch=gfx1201 opt=O3
	.text
	.amdgcn_target "amdgcn-amd-amdhsa--gfx1201"
	.amdhsa_code_object_version 6
	.protected	fft_rtc_fwd_len1183_factors_7_13_13_wgs_182_tpt_91_halfLds_dp_op_CI_CI_unitstride_sbrr_dirReg ; -- Begin function fft_rtc_fwd_len1183_factors_7_13_13_wgs_182_tpt_91_halfLds_dp_op_CI_CI_unitstride_sbrr_dirReg
	.globl	fft_rtc_fwd_len1183_factors_7_13_13_wgs_182_tpt_91_halfLds_dp_op_CI_CI_unitstride_sbrr_dirReg
	.p2align	8
	.type	fft_rtc_fwd_len1183_factors_7_13_13_wgs_182_tpt_91_halfLds_dp_op_CI_CI_unitstride_sbrr_dirReg,@function
fft_rtc_fwd_len1183_factors_7_13_13_wgs_182_tpt_91_halfLds_dp_op_CI_CI_unitstride_sbrr_dirReg: ; @fft_rtc_fwd_len1183_factors_7_13_13_wgs_182_tpt_91_halfLds_dp_op_CI_CI_unitstride_sbrr_dirReg
; %bb.0:
	s_clause 0x2
	s_load_b128 s[8:11], s[0:1], 0x0
	s_load_b128 s[4:7], s[0:1], 0x58
	;; [unrolled: 1-line block ×3, first 2 shown]
	v_mul_u32_u24_e32 v1, 0x2d1, v0
	v_mov_b32_e32 v4, 0
	v_mov_b32_e32 v5, 0
	s_delay_alu instid0(VALU_DEP_3) | instskip(SKIP_1) | instid1(VALU_DEP_2)
	v_lshrrev_b32_e32 v63, 16, v1
	v_mov_b32_e32 v1, 0
	v_lshl_add_u32 v6, ttmp9, 1, v63
	s_delay_alu instid0(VALU_DEP_2) | instskip(SKIP_2) | instid1(VALU_DEP_1)
	v_mov_b32_e32 v7, v1
	s_wait_kmcnt 0x0
	v_cmp_lt_u64_e64 s2, s[10:11], 2
	s_and_b32 vcc_lo, exec_lo, s2
	s_cbranch_vccnz .LBB0_8
; %bb.1:
	s_load_b64 s[2:3], s[0:1], 0x10
	v_mov_b32_e32 v4, 0
	v_mov_b32_e32 v5, 0
	s_add_nc_u64 s[16:17], s[14:15], 8
	s_add_nc_u64 s[18:19], s[12:13], 8
	s_mov_b64 s[20:21], 1
	s_delay_alu instid0(VALU_DEP_1)
	v_dual_mov_b32 v59, v5 :: v_dual_mov_b32 v58, v4
	s_wait_kmcnt 0x0
	s_add_nc_u64 s[22:23], s[2:3], 8
	s_mov_b32 s3, 0
.LBB0_2:                                ; =>This Inner Loop Header: Depth=1
	s_load_b64 s[24:25], s[22:23], 0x0
                                        ; implicit-def: $vgpr60_vgpr61
	s_mov_b32 s2, exec_lo
	s_wait_kmcnt 0x0
	v_or_b32_e32 v2, s25, v7
	s_delay_alu instid0(VALU_DEP_1)
	v_cmpx_ne_u64_e32 0, v[1:2]
	s_wait_alu 0xfffe
	s_xor_b32 s26, exec_lo, s2
	s_cbranch_execz .LBB0_4
; %bb.3:                                ;   in Loop: Header=BB0_2 Depth=1
	s_cvt_f32_u32 s2, s24
	s_cvt_f32_u32 s27, s25
	s_sub_nc_u64 s[30:31], 0, s[24:25]
	s_wait_alu 0xfffe
	s_delay_alu instid0(SALU_CYCLE_1) | instskip(SKIP_1) | instid1(SALU_CYCLE_2)
	s_fmamk_f32 s2, s27, 0x4f800000, s2
	s_wait_alu 0xfffe
	v_s_rcp_f32 s2, s2
	s_delay_alu instid0(TRANS32_DEP_1) | instskip(SKIP_1) | instid1(SALU_CYCLE_2)
	s_mul_f32 s2, s2, 0x5f7ffffc
	s_wait_alu 0xfffe
	s_mul_f32 s27, s2, 0x2f800000
	s_wait_alu 0xfffe
	s_delay_alu instid0(SALU_CYCLE_2) | instskip(SKIP_1) | instid1(SALU_CYCLE_2)
	s_trunc_f32 s27, s27
	s_wait_alu 0xfffe
	s_fmamk_f32 s2, s27, 0xcf800000, s2
	s_cvt_u32_f32 s29, s27
	s_wait_alu 0xfffe
	s_delay_alu instid0(SALU_CYCLE_1) | instskip(SKIP_1) | instid1(SALU_CYCLE_2)
	s_cvt_u32_f32 s28, s2
	s_wait_alu 0xfffe
	s_mul_u64 s[34:35], s[30:31], s[28:29]
	s_wait_alu 0xfffe
	s_mul_hi_u32 s37, s28, s35
	s_mul_i32 s36, s28, s35
	s_mul_hi_u32 s2, s28, s34
	s_mul_i32 s33, s29, s34
	s_wait_alu 0xfffe
	s_add_nc_u64 s[36:37], s[2:3], s[36:37]
	s_mul_hi_u32 s27, s29, s34
	s_mul_hi_u32 s38, s29, s35
	s_add_co_u32 s2, s36, s33
	s_wait_alu 0xfffe
	s_add_co_ci_u32 s2, s37, s27
	s_mul_i32 s34, s29, s35
	s_add_co_ci_u32 s35, s38, 0
	s_wait_alu 0xfffe
	s_add_nc_u64 s[34:35], s[2:3], s[34:35]
	s_wait_alu 0xfffe
	v_add_co_u32 v2, s2, s28, s34
	s_delay_alu instid0(VALU_DEP_1) | instskip(SKIP_1) | instid1(VALU_DEP_1)
	s_cmp_lg_u32 s2, 0
	s_add_co_ci_u32 s29, s29, s35
	v_readfirstlane_b32 s28, v2
	s_wait_alu 0xfffe
	s_delay_alu instid0(VALU_DEP_1)
	s_mul_u64 s[30:31], s[30:31], s[28:29]
	s_wait_alu 0xfffe
	s_mul_hi_u32 s35, s28, s31
	s_mul_i32 s34, s28, s31
	s_mul_hi_u32 s2, s28, s30
	s_mul_i32 s33, s29, s30
	s_wait_alu 0xfffe
	s_add_nc_u64 s[34:35], s[2:3], s[34:35]
	s_mul_hi_u32 s27, s29, s30
	s_mul_hi_u32 s28, s29, s31
	s_wait_alu 0xfffe
	s_add_co_u32 s2, s34, s33
	s_add_co_ci_u32 s2, s35, s27
	s_mul_i32 s30, s29, s31
	s_add_co_ci_u32 s31, s28, 0
	s_wait_alu 0xfffe
	s_add_nc_u64 s[30:31], s[2:3], s[30:31]
	s_wait_alu 0xfffe
	v_add_co_u32 v8, s2, v2, s30
	s_delay_alu instid0(VALU_DEP_1) | instskip(SKIP_1) | instid1(VALU_DEP_1)
	s_cmp_lg_u32 s2, 0
	s_add_co_ci_u32 s2, s29, s31
	v_mul_hi_u32 v12, v6, v8
	s_wait_alu 0xfffe
	v_mad_co_u64_u32 v[2:3], null, v6, s2, 0
	v_mad_co_u64_u32 v[8:9], null, v7, v8, 0
	;; [unrolled: 1-line block ×3, first 2 shown]
	s_delay_alu instid0(VALU_DEP_3) | instskip(SKIP_1) | instid1(VALU_DEP_4)
	v_add_co_u32 v2, vcc_lo, v12, v2
	s_wait_alu 0xfffd
	v_add_co_ci_u32_e32 v3, vcc_lo, 0, v3, vcc_lo
	s_delay_alu instid0(VALU_DEP_2) | instskip(SKIP_1) | instid1(VALU_DEP_2)
	v_add_co_u32 v2, vcc_lo, v2, v8
	s_wait_alu 0xfffd
	v_add_co_ci_u32_e32 v2, vcc_lo, v3, v9, vcc_lo
	s_wait_alu 0xfffd
	v_add_co_ci_u32_e32 v3, vcc_lo, 0, v11, vcc_lo
	s_delay_alu instid0(VALU_DEP_2) | instskip(SKIP_1) | instid1(VALU_DEP_2)
	v_add_co_u32 v8, vcc_lo, v2, v10
	s_wait_alu 0xfffd
	v_add_co_ci_u32_e32 v9, vcc_lo, 0, v3, vcc_lo
	s_delay_alu instid0(VALU_DEP_2) | instskip(SKIP_1) | instid1(VALU_DEP_3)
	v_mul_lo_u32 v10, s25, v8
	v_mad_co_u64_u32 v[2:3], null, s24, v8, 0
	v_mul_lo_u32 v11, s24, v9
	s_delay_alu instid0(VALU_DEP_2) | instskip(NEXT) | instid1(VALU_DEP_2)
	v_sub_co_u32 v2, vcc_lo, v6, v2
	v_add3_u32 v3, v3, v11, v10
	s_delay_alu instid0(VALU_DEP_1) | instskip(SKIP_1) | instid1(VALU_DEP_1)
	v_sub_nc_u32_e32 v10, v7, v3
	s_wait_alu 0xfffd
	v_subrev_co_ci_u32_e64 v10, s2, s25, v10, vcc_lo
	v_add_co_u32 v11, s2, v8, 2
	s_wait_alu 0xf1ff
	v_add_co_ci_u32_e64 v12, s2, 0, v9, s2
	v_sub_co_u32 v13, s2, v2, s24
	v_sub_co_ci_u32_e32 v3, vcc_lo, v7, v3, vcc_lo
	s_wait_alu 0xf1ff
	v_subrev_co_ci_u32_e64 v10, s2, 0, v10, s2
	s_delay_alu instid0(VALU_DEP_3) | instskip(NEXT) | instid1(VALU_DEP_3)
	v_cmp_le_u32_e32 vcc_lo, s24, v13
	v_cmp_eq_u32_e64 s2, s25, v3
	s_wait_alu 0xfffd
	v_cndmask_b32_e64 v13, 0, -1, vcc_lo
	v_cmp_le_u32_e32 vcc_lo, s25, v10
	s_wait_alu 0xfffd
	v_cndmask_b32_e64 v14, 0, -1, vcc_lo
	v_cmp_le_u32_e32 vcc_lo, s24, v2
	;; [unrolled: 3-line block ×3, first 2 shown]
	s_wait_alu 0xfffd
	v_cndmask_b32_e64 v15, 0, -1, vcc_lo
	v_cmp_eq_u32_e32 vcc_lo, s25, v10
	s_wait_alu 0xf1ff
	s_delay_alu instid0(VALU_DEP_2)
	v_cndmask_b32_e64 v2, v15, v2, s2
	s_wait_alu 0xfffd
	v_cndmask_b32_e32 v10, v14, v13, vcc_lo
	v_add_co_u32 v13, vcc_lo, v8, 1
	s_wait_alu 0xfffd
	v_add_co_ci_u32_e32 v14, vcc_lo, 0, v9, vcc_lo
	s_delay_alu instid0(VALU_DEP_3) | instskip(SKIP_1) | instid1(VALU_DEP_2)
	v_cmp_ne_u32_e32 vcc_lo, 0, v10
	s_wait_alu 0xfffd
	v_dual_cndmask_b32 v3, v14, v12 :: v_dual_cndmask_b32 v10, v13, v11
	v_cmp_ne_u32_e32 vcc_lo, 0, v2
	s_wait_alu 0xfffd
	s_delay_alu instid0(VALU_DEP_2)
	v_dual_cndmask_b32 v61, v9, v3 :: v_dual_cndmask_b32 v60, v8, v10
.LBB0_4:                                ;   in Loop: Header=BB0_2 Depth=1
	s_wait_alu 0xfffe
	s_and_not1_saveexec_b32 s2, s26
	s_cbranch_execz .LBB0_6
; %bb.5:                                ;   in Loop: Header=BB0_2 Depth=1
	v_cvt_f32_u32_e32 v2, s24
	s_sub_co_i32 s26, 0, s24
	v_mov_b32_e32 v61, v1
	s_delay_alu instid0(VALU_DEP_2) | instskip(NEXT) | instid1(TRANS32_DEP_1)
	v_rcp_iflag_f32_e32 v2, v2
	v_mul_f32_e32 v2, 0x4f7ffffe, v2
	s_delay_alu instid0(VALU_DEP_1) | instskip(SKIP_1) | instid1(VALU_DEP_1)
	v_cvt_u32_f32_e32 v2, v2
	s_wait_alu 0xfffe
	v_mul_lo_u32 v3, s26, v2
	s_delay_alu instid0(VALU_DEP_1) | instskip(NEXT) | instid1(VALU_DEP_1)
	v_mul_hi_u32 v3, v2, v3
	v_add_nc_u32_e32 v2, v2, v3
	s_delay_alu instid0(VALU_DEP_1) | instskip(NEXT) | instid1(VALU_DEP_1)
	v_mul_hi_u32 v2, v6, v2
	v_mul_lo_u32 v3, v2, s24
	v_add_nc_u32_e32 v8, 1, v2
	s_delay_alu instid0(VALU_DEP_2) | instskip(NEXT) | instid1(VALU_DEP_1)
	v_sub_nc_u32_e32 v3, v6, v3
	v_subrev_nc_u32_e32 v9, s24, v3
	v_cmp_le_u32_e32 vcc_lo, s24, v3
	s_wait_alu 0xfffd
	s_delay_alu instid0(VALU_DEP_2) | instskip(NEXT) | instid1(VALU_DEP_1)
	v_dual_cndmask_b32 v3, v3, v9 :: v_dual_cndmask_b32 v2, v2, v8
	v_cmp_le_u32_e32 vcc_lo, s24, v3
	s_delay_alu instid0(VALU_DEP_2) | instskip(SKIP_1) | instid1(VALU_DEP_1)
	v_add_nc_u32_e32 v8, 1, v2
	s_wait_alu 0xfffd
	v_cndmask_b32_e32 v60, v2, v8, vcc_lo
.LBB0_6:                                ;   in Loop: Header=BB0_2 Depth=1
	s_wait_alu 0xfffe
	s_or_b32 exec_lo, exec_lo, s2
	v_mul_lo_u32 v8, v61, s24
	s_delay_alu instid0(VALU_DEP_2)
	v_mul_lo_u32 v9, v60, s25
	s_load_b64 s[26:27], s[18:19], 0x0
	v_mad_co_u64_u32 v[2:3], null, v60, s24, 0
	s_load_b64 s[24:25], s[16:17], 0x0
	s_add_nc_u64 s[20:21], s[20:21], 1
	s_add_nc_u64 s[16:17], s[16:17], 8
	s_wait_alu 0xfffe
	v_cmp_ge_u64_e64 s2, s[20:21], s[10:11]
	s_add_nc_u64 s[18:19], s[18:19], 8
	s_add_nc_u64 s[22:23], s[22:23], 8
	v_add3_u32 v3, v3, v9, v8
	v_sub_co_u32 v2, vcc_lo, v6, v2
	s_wait_alu 0xfffd
	s_delay_alu instid0(VALU_DEP_2) | instskip(SKIP_2) | instid1(VALU_DEP_1)
	v_sub_co_ci_u32_e32 v3, vcc_lo, v7, v3, vcc_lo
	s_and_b32 vcc_lo, exec_lo, s2
	s_wait_kmcnt 0x0
	v_mul_lo_u32 v6, s26, v3
	v_mul_lo_u32 v7, s27, v2
	v_mad_co_u64_u32 v[4:5], null, s26, v2, v[4:5]
	v_mul_lo_u32 v3, s24, v3
	v_mul_lo_u32 v8, s25, v2
	v_mad_co_u64_u32 v[58:59], null, s24, v2, v[58:59]
	s_delay_alu instid0(VALU_DEP_4) | instskip(NEXT) | instid1(VALU_DEP_2)
	v_add3_u32 v5, v7, v5, v6
	v_add3_u32 v59, v8, v59, v3
	s_wait_alu 0xfffe
	s_cbranch_vccnz .LBB0_9
; %bb.7:                                ;   in Loop: Header=BB0_2 Depth=1
	v_dual_mov_b32 v6, v60 :: v_dual_mov_b32 v7, v61
	s_branch .LBB0_2
.LBB0_8:
	v_dual_mov_b32 v59, v5 :: v_dual_mov_b32 v58, v4
	v_dual_mov_b32 v61, v7 :: v_dual_mov_b32 v60, v6
.LBB0_9:
	s_load_b64 s[0:1], s[0:1], 0x28
	v_mul_hi_u32 v1, 0x2d02d03, v0
	s_lshl_b64 s[10:11], s[10:11], 3
                                        ; implicit-def: $vgpr71
	s_wait_alu 0xfffe
	s_add_nc_u64 s[2:3], s[14:15], s[10:11]
                                        ; implicit-def: $sgpr14
	s_wait_kmcnt 0x0
	v_cmp_gt_u64_e32 vcc_lo, s[0:1], v[60:61]
	v_cmp_le_u64_e64 s0, s[0:1], v[60:61]
	s_delay_alu instid0(VALU_DEP_1)
	s_and_saveexec_b32 s1, s0
	s_wait_alu 0xfffe
	s_xor_b32 s0, exec_lo, s1
; %bb.10:
	v_mul_u32_u24_e32 v1, 0x5b, v1
	s_mov_b32 s14, 0
                                        ; implicit-def: $vgpr4_vgpr5
	s_delay_alu instid0(VALU_DEP_1)
	v_sub_nc_u32_e32 v71, v0, v1
                                        ; implicit-def: $vgpr1
                                        ; implicit-def: $vgpr0
; %bb.11:
	s_wait_alu 0xfffe
	s_or_saveexec_b32 s1, s0
	s_load_b64 s[2:3], s[2:3], 0x0
	v_mov_b32_e32 v62, s14
                                        ; implicit-def: $vgpr48_vgpr49
                                        ; implicit-def: $vgpr44_vgpr45
                                        ; implicit-def: $vgpr40_vgpr41
                                        ; implicit-def: $vgpr36_vgpr37
                                        ; implicit-def: $vgpr32_vgpr33
                                        ; implicit-def: $vgpr28_vgpr29
                                        ; implicit-def: $vgpr16_vgpr17
                                        ; implicit-def: $vgpr56_vgpr57
                                        ; implicit-def: $vgpr52_vgpr53
                                        ; implicit-def: $vgpr24_vgpr25
                                        ; implicit-def: $vgpr20_vgpr21
                                        ; implicit-def: $vgpr10_vgpr11
                                        ; implicit-def: $vgpr6_vgpr7
                                        ; implicit-def: $vgpr2_vgpr3
	s_xor_b32 exec_lo, exec_lo, s1
	s_cbranch_execz .LBB0_15
; %bb.12:
	s_add_nc_u64 s[10:11], s[12:13], s[10:11]
                                        ; implicit-def: $vgpr14_vgpr15
                                        ; implicit-def: $vgpr26_vgpr27
                                        ; implicit-def: $vgpr30_vgpr31
                                        ; implicit-def: $vgpr34_vgpr35
                                        ; implicit-def: $vgpr38_vgpr39
                                        ; implicit-def: $vgpr42_vgpr43
                                        ; implicit-def: $vgpr46_vgpr47
	s_load_b64 s[10:11], s[10:11], 0x0
	s_wait_kmcnt 0x0
	v_mul_lo_u32 v6, s11, v60
	v_mul_lo_u32 v7, s10, v61
	v_mad_co_u64_u32 v[2:3], null, s10, v60, 0
	s_delay_alu instid0(VALU_DEP_1) | instskip(SKIP_1) | instid1(VALU_DEP_2)
	v_add3_u32 v3, v3, v7, v6
	v_mul_u32_u24_e32 v6, 0x5b, v1
	v_lshlrev_b64_e32 v[1:2], 4, v[2:3]
	v_lshlrev_b64_e32 v[3:4], 4, v[4:5]
	s_delay_alu instid0(VALU_DEP_3) | instskip(NEXT) | instid1(VALU_DEP_3)
	v_sub_nc_u32_e32 v71, v0, v6
	v_add_co_u32 v0, s0, s4, v1
	s_wait_alu 0xf1ff
	s_delay_alu instid0(VALU_DEP_4) | instskip(NEXT) | instid1(VALU_DEP_3)
	v_add_co_ci_u32_e64 v1, s0, s5, v2, s0
	v_lshlrev_b32_e32 v2, 4, v71
	s_delay_alu instid0(VALU_DEP_3) | instskip(SKIP_1) | instid1(VALU_DEP_3)
	v_add_co_u32 v0, s0, v0, v3
	s_wait_alu 0xf1ff
	v_add_co_ci_u32_e64 v1, s0, v1, v4, s0
	s_mov_b32 s4, exec_lo
	s_delay_alu instid0(VALU_DEP_2) | instskip(SKIP_1) | instid1(VALU_DEP_2)
	v_add_co_u32 v12, s0, v0, v2
	s_wait_alu 0xf1ff
	v_add_co_ci_u32_e64 v13, s0, 0, v1, s0
	s_clause 0x6
	global_load_b128 v[0:3], v[12:13], off
	global_load_b128 v[4:7], v[12:13], off offset:2704
	global_load_b128 v[8:11], v[12:13], off offset:5408
	;; [unrolled: 1-line block ×6, first 2 shown]
	v_cmpx_gt_u32_e32 0x4e, v71
; %bb.13:
	s_clause 0x6
	global_load_b128 v[14:17], v[12:13], off offset:1456
	global_load_b128 v[26:29], v[12:13], off offset:4160
	;; [unrolled: 1-line block ×7, first 2 shown]
; %bb.14:
	s_wait_alu 0xfffe
	s_or_b32 exec_lo, exec_lo, s4
	v_mov_b32_e32 v62, v71
.LBB0_15:
	s_or_b32 exec_lo, exec_lo, s1
	s_wait_loadcnt 0x0
	v_add_f64_e32 v[12:13], v[54:55], v[4:5]
	v_add_f64_e32 v[64:65], v[50:51], v[8:9]
	v_add_f64_e64 v[66:67], v[10:11], -v[52:53]
	v_add_f64_e32 v[68:69], v[22:23], v[18:19]
	v_add_f64_e64 v[72:73], v[24:25], -v[20:21]
	v_add_f64_e64 v[74:75], v[6:7], -v[56:57]
	s_mov_b32 s4, 0x37e14327
	s_mov_b32 s12, 0xe976ee23
	;; [unrolled: 1-line block ×20, first 2 shown]
	v_add_f64_e32 v[76:77], v[64:65], v[12:13]
	s_delay_alu instid0(VALU_DEP_4) | instskip(NEXT) | instid1(VALU_DEP_4)
	v_add_f64_e64 v[78:79], v[12:13], -v[68:69]
	v_add_f64_e64 v[80:81], v[72:73], -v[66:67]
	s_delay_alu instid0(VALU_DEP_4)
	v_add_f64_e64 v[82:83], v[66:67], -v[74:75]
	v_add_f64_e32 v[66:67], v[72:73], v[66:67]
	v_add_f64_e64 v[72:73], v[74:75], -v[72:73]
	v_add_f64_e32 v[76:77], v[68:69], v[76:77]
	v_add_f64_e64 v[68:69], v[68:69], -v[64:65]
	s_wait_alu 0xfffe
	v_mul_f64_e32 v[78:79], s[4:5], v[78:79]
	v_mul_f64_e32 v[80:81], s[12:13], v[80:81]
	;; [unrolled: 1-line block ×3, first 2 shown]
	v_add_f64_e32 v[86:87], v[0:1], v[76:77]
	v_add_f64_e64 v[0:1], v[64:65], -v[12:13]
	v_mul_f64_e32 v[12:13], s[14:15], v[68:69]
	v_add_f64_e32 v[64:65], v[66:67], v[74:75]
	v_fma_f64 v[66:67], v[68:69], s[14:15], v[78:79]
	v_fma_f64 v[68:69], v[72:73], s[22:23], v[80:81]
	v_fma_f64 v[74:75], v[82:83], s[10:11], -v[80:81]
	v_fma_f64 v[72:73], v[72:73], s[24:25], -v[84:85]
	v_fma_f64 v[76:77], v[76:77], s[16:17], v[86:87]
	v_fma_f64 v[78:79], v[0:1], s[20:21], -v[78:79]
	v_fma_f64 v[0:1], v[0:1], s[18:19], -v[12:13]
	v_fma_f64 v[12:13], v[64:65], s[26:27], v[68:69]
	v_fma_f64 v[68:69], v[64:65], s[26:27], v[74:75]
	;; [unrolled: 1-line block ×3, first 2 shown]
	v_add_f64_e32 v[66:67], v[66:67], v[76:77]
	v_add_f64_e32 v[72:73], v[78:79], v[76:77]
	;; [unrolled: 1-line block ×3, first 2 shown]
	s_delay_alu instid0(VALU_DEP_3) | instskip(NEXT) | instid1(VALU_DEP_3)
	v_add_f64_e32 v[74:75], v[12:13], v[66:67]
	v_add_f64_e32 v[76:77], v[64:65], v[72:73]
	s_delay_alu instid0(VALU_DEP_3)
	v_add_f64_e64 v[78:79], v[0:1], -v[68:69]
	v_add_f64_e32 v[68:69], v[68:69], v[0:1]
	v_add_f64_e64 v[64:65], v[72:73], -v[64:65]
	v_add_f64_e64 v[12:13], v[66:67], -v[12:13]
	v_and_b32_e32 v1, 1, v63
	v_mad_u32_u24 v0, v71, 56, 0
	s_delay_alu instid0(VALU_DEP_2) | instskip(SKIP_1) | instid1(VALU_DEP_1)
	v_cmp_eq_u32_e64 s0, 1, v1
	s_wait_alu 0xf1ff
	v_cndmask_b32_e64 v1, 0, 0x49f, s0
	v_cmp_gt_u32_e64 s0, 0x4e, v71
	s_delay_alu instid0(VALU_DEP_2)
	v_lshl_add_u32 v63, v1, 3, v0
	ds_store_2addr_b64 v63, v[86:87], v[74:75] offset1:1
	ds_store_2addr_b64 v63, v[76:77], v[78:79] offset0:2 offset1:3
	ds_store_2addr_b64 v63, v[68:69], v[64:65] offset0:4 offset1:5
	ds_store_b64 v63, v[12:13] offset:48
	s_and_saveexec_b32 s1, s0
	s_cbranch_execz .LBB0_17
; %bb.16:
	v_add_f64_e32 v[12:13], v[46:47], v[26:27]
	v_add_f64_e32 v[64:65], v[42:43], v[30:31]
	;; [unrolled: 1-line block ×3, first 2 shown]
	v_add_f64_e64 v[68:69], v[28:29], -v[48:49]
	v_add_f64_e64 v[72:73], v[32:33], -v[44:45]
	;; [unrolled: 1-line block ×3, first 2 shown]
	v_add_nc_u32_e32 v70, 0x13e8, v63
	v_add_f64_e32 v[76:77], v[64:65], v[12:13]
	v_add_f64_e64 v[78:79], v[12:13], -v[66:67]
	v_add_f64_e64 v[12:13], v[64:65], -v[12:13]
	;; [unrolled: 1-line block ×5, first 2 shown]
	v_add_f64_e32 v[72:73], v[74:75], v[72:73]
	v_add_f64_e32 v[76:77], v[66:67], v[76:77]
	v_add_f64_e64 v[66:67], v[66:67], -v[64:65]
	v_mul_f64_e32 v[64:65], s[4:5], v[78:79]
	v_mul_f64_e32 v[74:75], s[10:11], v[80:81]
	v_mul_f64_e32 v[78:79], s[12:13], v[82:83]
	v_add_f64_e32 v[68:69], v[72:73], v[68:69]
	v_add_f64_e32 v[14:15], v[14:15], v[76:77]
	v_mul_f64_e32 v[82:83], s[14:15], v[66:67]
	v_fma_f64 v[72:73], v[12:13], s[20:21], -v[64:65]
	v_fma_f64 v[74:75], v[84:85], s[24:25], -v[74:75]
	;; [unrolled: 1-line block ×3, first 2 shown]
	v_fma_f64 v[78:79], v[84:85], s[22:23], v[78:79]
	v_fma_f64 v[64:65], v[66:67], s[14:15], v[64:65]
	;; [unrolled: 1-line block ×3, first 2 shown]
	v_fma_f64 v[12:13], v[12:13], s[18:19], -v[82:83]
	v_fma_f64 v[66:67], v[68:69], s[26:27], v[74:75]
	v_fma_f64 v[74:75], v[68:69], s[26:27], v[80:81]
	;; [unrolled: 1-line block ×3, first 2 shown]
	v_add_f64_e32 v[72:73], v[72:73], v[76:77]
	v_add_f64_e32 v[12:13], v[12:13], v[76:77]
	v_add_f64_e32 v[64:65], v[64:65], v[76:77]
	s_delay_alu instid0(VALU_DEP_3) | instskip(NEXT) | instid1(VALU_DEP_3)
	v_add_f64_e64 v[76:77], v[72:73], -v[66:67]
	v_add_f64_e64 v[78:79], v[12:13], -v[74:75]
	v_add_f64_e32 v[66:67], v[66:67], v[72:73]
	v_add_f64_e32 v[12:13], v[74:75], v[12:13]
	;; [unrolled: 1-line block ×3, first 2 shown]
	v_add_f64_e64 v[64:65], v[64:65], -v[68:69]
	v_add_nc_u32_e32 v68, 0x13f8, v63
	v_add_nc_u32_e32 v69, 0x1408, v63
	ds_store_2addr_b64 v68, v[66:67], v[78:79] offset1:1
	ds_store_2addr_b64 v69, v[12:13], v[76:77] offset1:1
	;; [unrolled: 1-line block ×3, first 2 shown]
	ds_store_b64 v63, v[64:65] offset:5144
.LBB0_17:
	s_wait_alu 0xfffe
	s_or_b32 exec_lo, exec_lo, s1
	v_add_f64_e32 v[6:7], v[56:57], v[6:7]
	v_add_f64_e32 v[10:11], v[52:53], v[10:11]
	v_add_f64_e64 v[8:9], v[8:9], -v[50:51]
	v_add_f64_e32 v[12:13], v[24:25], v[20:21]
	v_add_f64_e64 v[14:15], v[22:23], -v[18:19]
	v_add_f64_e64 v[4:5], v[4:5], -v[54:55]
	v_lshlrev_b32_e32 v79, 3, v1
	v_lshlrev_b32_e32 v1, 3, v71
	global_wb scope:SCOPE_SE
	s_wait_dscnt 0x0
	s_wait_kmcnt 0x0
	s_barrier_signal -1
	s_barrier_wait -1
	global_inv scope:SCOPE_SE
	v_add3_u32 v72, 0, v79, v1
	v_add_f64_e32 v[18:19], v[10:11], v[6:7]
	v_add_f64_e64 v[20:21], v[6:7], -v[12:13]
	v_add_f64_e64 v[22:23], v[14:15], -v[8:9]
	;; [unrolled: 1-line block ×3, first 2 shown]
	v_add_f64_e32 v[8:9], v[14:15], v[8:9]
	v_add_f64_e64 v[14:15], v[4:5], -v[14:15]
	v_add_f64_e32 v[18:19], v[12:13], v[18:19]
	v_add_f64_e64 v[12:13], v[12:13], -v[10:11]
	v_mul_f64_e32 v[20:21], s[4:5], v[20:21]
	v_mul_f64_e32 v[22:23], s[12:13], v[22:23]
	;; [unrolled: 1-line block ×3, first 2 shown]
	v_add_f64_e32 v[4:5], v[8:9], v[4:5]
	v_add_f64_e32 v[52:53], v[2:3], v[18:19]
	v_add_f64_e64 v[2:3], v[10:11], -v[6:7]
	v_mul_f64_e32 v[6:7], s[14:15], v[12:13]
	v_fma_f64 v[8:9], v[12:13], s[14:15], v[20:21]
	v_fma_f64 v[10:11], v[14:15], s[22:23], v[22:23]
	v_fma_f64 v[12:13], v[24:25], s[10:11], -v[22:23]
	v_fma_f64 v[14:15], v[14:15], s[24:25], -v[50:51]
	v_fma_f64 v[18:19], v[18:19], s[16:17], v[52:53]
	v_fma_f64 v[20:21], v[2:3], s[20:21], -v[20:21]
	v_fma_f64 v[2:3], v[2:3], s[18:19], -v[6:7]
	v_fma_f64 v[6:7], v[4:5], s[26:27], v[10:11]
	v_fma_f64 v[10:11], v[4:5], s[26:27], v[12:13]
	;; [unrolled: 1-line block ×3, first 2 shown]
	v_mul_i32_i24_e32 v14, 0xffffffd0, v71
	s_delay_alu instid0(VALU_DEP_1) | instskip(NEXT) | instid1(VALU_DEP_1)
	v_add3_u32 v73, v0, v14, v79
	v_add_nc_u32_e32 v74, 0x800, v73
	v_add_nc_u32_e32 v75, 0xc00, v73
	;; [unrolled: 1-line block ×5, first 2 shown]
	v_add_f64_e32 v[8:9], v[8:9], v[18:19]
	v_add_f64_e32 v[12:13], v[20:21], v[18:19]
	;; [unrolled: 1-line block ×3, first 2 shown]
	ds_load_b64 v[50:51], v72
	ds_load_2addr_b64 v[18:21], v73 offset0:91 offset1:182
	v_add_f64_e64 v[54:55], v[8:9], -v[6:7]
	v_add_f64_e64 v[56:57], v[12:13], -v[4:5]
	v_add_f64_e32 v[64:65], v[10:11], v[2:3]
	v_add_f64_e64 v[66:67], v[2:3], -v[10:11]
	v_add_f64_e32 v[68:69], v[4:5], v[12:13]
	v_add_f64_e32 v[80:81], v[6:7], v[8:9]
	ds_load_2addr_b64 v[12:15], v74 offset0:17 offset1:108
	ds_load_2addr_b64 v[4:7], v75 offset0:71 offset1:162
	;; [unrolled: 1-line block ×5, first 2 shown]
	global_wb scope:SCOPE_SE
	s_wait_dscnt 0x0
	s_barrier_signal -1
	s_barrier_wait -1
	global_inv scope:SCOPE_SE
	ds_store_2addr_b64 v63, v[52:53], v[54:55] offset1:1
	ds_store_2addr_b64 v63, v[56:57], v[64:65] offset0:2 offset1:3
	ds_store_2addr_b64 v63, v[66:67], v[68:69] offset0:4 offset1:5
	ds_store_b64 v63, v[80:81] offset:48
	s_and_saveexec_b32 s1, s0
	s_cbranch_execz .LBB0_19
; %bb.18:
	v_add_f64_e32 v[28:29], v[48:49], v[28:29]
	v_add_f64_e32 v[32:33], v[44:45], v[32:33]
	;; [unrolled: 1-line block ×3, first 2 shown]
	v_add_f64_e64 v[30:31], v[30:31], -v[42:43]
	v_add_f64_e64 v[34:35], v[38:39], -v[34:35]
	;; [unrolled: 1-line block ×3, first 2 shown]
	s_mov_b32 s10, 0x36b3c0b5
	s_mov_b32 s11, 0x3fac98ee
	;; [unrolled: 1-line block ×6, first 2 shown]
	v_add_f64_e32 v[38:39], v[32:33], v[28:29]
	v_add_f64_e64 v[40:41], v[28:29], -v[36:37]
	v_add_f64_e64 v[42:43], v[36:37], -v[32:33]
	;; [unrolled: 1-line block ×5, first 2 shown]
	v_add_f64_e32 v[30:31], v[34:35], v[30:31]
	v_add_f64_e64 v[32:33], v[26:27], -v[34:35]
	v_add_f64_e32 v[36:37], v[36:37], v[38:39]
	v_mul_f64_e32 v[34:35], s[4:5], v[40:41]
	s_mov_b32 s4, 0x429ad128
	s_wait_alu 0xfffe
	v_mul_f64_e32 v[38:39], s[10:11], v[42:43]
	v_mul_f64_e32 v[40:41], s[12:13], v[44:45]
	s_mov_b32 s5, 0x3febfeb5
	s_mov_b32 s12, 0xaaaaaaaa
	s_wait_alu 0xfffe
	v_mul_f64_e32 v[44:45], s[4:5], v[46:47]
	s_mov_b32 s13, 0xbff2aaaa
	v_add_f64_e32 v[26:27], v[30:31], v[26:27]
	v_add_f64_e32 v[16:17], v[16:17], v[36:37]
	v_fma_f64 v[30:31], v[42:43], s[10:11], v[34:35]
	v_fma_f64 v[38:39], v[28:29], s[14:15], -v[38:39]
	s_mov_b32 s15, 0xbfe77f67
	v_fma_f64 v[42:43], v[32:33], s[16:17], v[40:41]
	s_mov_b32 s17, 0xbfd5d0dc
	v_fma_f64 v[40:41], v[46:47], s[4:5], -v[40:41]
	s_wait_alu 0xfffe
	v_fma_f64 v[32:33], v[32:33], s[16:17], -v[44:45]
	v_fma_f64 v[28:29], v[28:29], s[14:15], -v[34:35]
	s_mov_b32 s4, 0x37c3f68c
	s_mov_b32 s5, 0x3fdc38aa
	v_fma_f64 v[36:37], v[36:37], s[12:13], v[16:17]
	s_wait_alu 0xfffe
	v_fma_f64 v[34:35], v[26:27], s[4:5], v[42:43]
	v_fma_f64 v[40:41], v[26:27], s[4:5], v[40:41]
	;; [unrolled: 1-line block ×3, first 2 shown]
	s_delay_alu instid0(VALU_DEP_4) | instskip(SKIP_2) | instid1(VALU_DEP_3)
	v_add_f64_e32 v[30:31], v[30:31], v[36:37]
	v_add_f64_e32 v[28:29], v[28:29], v[36:37]
	v_add_f64_e32 v[32:33], v[38:39], v[36:37]
	v_add_f64_e64 v[36:37], v[30:31], -v[34:35]
	s_delay_alu instid0(VALU_DEP_3) | instskip(NEXT) | instid1(VALU_DEP_3)
	v_add_f64_e64 v[38:39], v[28:29], -v[26:27]
	v_add_f64_e32 v[42:43], v[40:41], v[32:33]
	v_add_f64_e64 v[32:33], v[32:33], -v[40:41]
	v_add_f64_e32 v[26:27], v[26:27], v[28:29]
	v_add_f64_e32 v[28:29], v[34:35], v[30:31]
	v_add_nc_u32_e32 v30, 0x5b, v71
	s_delay_alu instid0(VALU_DEP_1) | instskip(NEXT) | instid1(VALU_DEP_1)
	v_mul_u32_u24_e32 v30, 56, v30
	v_add3_u32 v30, 0, v30, v79
	ds_store_2addr_b64 v30, v[16:17], v[36:37] offset1:1
	ds_store_2addr_b64 v30, v[38:39], v[42:43] offset0:2 offset1:3
	ds_store_2addr_b64 v30, v[32:33], v[26:27] offset0:4 offset1:5
	ds_store_b64 v30, v[28:29] offset:48
.LBB0_19:
	s_wait_alu 0xfffe
	s_or_b32 exec_lo, exec_lo, s1
	v_and_b32_e32 v16, 0xff, v71
	global_wb scope:SCOPE_SE
	s_wait_dscnt 0x0
	s_barrier_signal -1
	s_barrier_wait -1
	global_inv scope:SCOPE_SE
	v_mul_lo_u16 v16, v16, 37
	s_mov_b32 s0, 0x42a4c3d2
	s_mov_b32 s1, 0xbfea55e2
	;; [unrolled: 1-line block ×4, first 2 shown]
	v_lshrrev_b16 v16, 8, v16
	s_mov_b32 s10, 0x2ef20147
	s_mov_b32 s11, 0xbfedeba7
	;; [unrolled: 1-line block ×4, first 2 shown]
	v_sub_nc_u16 v17, v71, v16
	s_mov_b32 s13, 0xbfd6b1d8
	s_mov_b32 s21, 0xbfefc445
	s_mov_b32 s14, 0x4bc48dbf
	s_mov_b32 s18, 0xebaa3ed8
	v_lshrrev_b16 v17, 1, v17
	s_mov_b32 s15, 0xbfcea1e5
	s_mov_b32 s19, 0x3fbedb7d
	;; [unrolled: 1-line block ×4, first 2 shown]
	v_and_b32_e32 v17, 0x7f, v17
	s_mov_b32 s29, 0x3fedeba7
	s_wait_alu 0xfffe
	s_mov_b32 s28, s10
	s_mov_b32 s22, 0x24c2f84
	;; [unrolled: 1-line block ×3, first 2 shown]
	v_add_nc_u16 v16, v17, v16
	s_mov_b32 s27, 0x3fe5384d
	s_wait_alu 0xfffe
	s_mov_b32 s26, s22
	s_mov_b32 s24, 0xd0032e0c
	;; [unrolled: 1-line block ×3, first 2 shown]
	v_lshrrev_b16 v80, 2, v16
	s_mov_b32 s34, 0x4267c47c
	s_mov_b32 s35, 0xbfddbe06
	;; [unrolled: 1-line block ×3, first 2 shown]
	s_wait_alu 0xfffe
	s_mov_b32 s30, s34
	v_mul_lo_u16 v16, v80, 7
	s_mov_b32 s36, 0xe00740e9
	s_mov_b32 s37, 0x3fec55a7
	;; [unrolled: 1-line block ×4, first 2 shown]
	v_sub_nc_u16 v16, v71, v16
	v_and_b32_e32 v80, 0xffff, v80
	s_mov_b32 s41, 0x3fcea1e5
	s_mov_b32 s40, s14
	;; [unrolled: 1-line block ×3, first 2 shown]
	v_and_b32_e32 v81, 0xff, v16
	v_mad_u32_u24 v80, 0x2d8, v80, 0
	s_mov_b32 s42, s0
	s_delay_alu instid0(VALU_DEP_2) | instskip(SKIP_1) | instid1(VALU_DEP_2)
	v_mul_u32_u24_e32 v16, 12, v81
	v_lshlrev_b32_e32 v81, 3, v81
	v_lshlrev_b32_e32 v42, 4, v16
	s_delay_alu instid0(VALU_DEP_2)
	v_add3_u32 v146, v80, v81, v79
	s_clause 0x1
	global_load_b128 v[26:29], v42, s[8:9]
	global_load_b128 v[30:33], v42, s[8:9] offset:16
	ds_load_2addr_b64 v[34:37], v73 offset0:91 offset1:182
	s_wait_loadcnt 0x1
	v_mul_f64_e32 v[16:17], v[18:19], v[28:29]
	s_wait_dscnt 0x0
	v_mul_f64_e32 v[28:29], v[34:35], v[28:29]
	s_delay_alu instid0(VALU_DEP_2) | instskip(NEXT) | instid1(VALU_DEP_2)
	v_fma_f64 v[16:17], v[34:35], v[26:27], v[16:17]
	v_fma_f64 v[28:29], v[18:19], v[26:27], -v[28:29]
	s_wait_loadcnt 0x0
	v_mul_f64_e32 v[18:19], v[20:21], v[32:33]
	s_delay_alu instid0(VALU_DEP_1)
	v_fma_f64 v[26:27], v[36:37], v[30:31], v[18:19]
	v_mul_f64_e32 v[18:19], v[36:37], v[32:33]
	s_clause 0x1
	global_load_b128 v[32:35], v42, s[8:9] offset:176
	global_load_b128 v[36:39], v42, s[8:9] offset:160
	ds_load_2addr_b64 v[43:46], v78 offset0:105 offset1:196
	v_fma_f64 v[30:31], v[20:21], v[30:31], -v[18:19]
	s_wait_loadcnt 0x1
	v_mul_f64_e32 v[18:19], v[24:25], v[34:35]
	s_wait_dscnt 0x0
	v_mul_f64_e32 v[20:21], v[45:46], v[34:35]
	s_delay_alu instid0(VALU_DEP_2) | instskip(NEXT) | instid1(VALU_DEP_2)
	v_fma_f64 v[18:19], v[45:46], v[32:33], v[18:19]
	v_fma_f64 v[24:25], v[24:25], v[32:33], -v[20:21]
	s_wait_loadcnt 0x0
	v_mul_f64_e32 v[20:21], v[22:23], v[38:39]
	v_mul_f64_e32 v[32:33], v[43:44], v[38:39]
	s_delay_alu instid0(VALU_DEP_2) | instskip(NEXT) | instid1(VALU_DEP_2)
	v_fma_f64 v[20:21], v[43:44], v[36:37], v[20:21]
	v_fma_f64 v[32:33], v[22:23], v[36:37], -v[32:33]
	s_clause 0x1
	global_load_b128 v[34:37], v42, s[8:9] offset:32
	global_load_b128 v[38:41], v42, s[8:9] offset:48
	ds_load_2addr_b64 v[43:46], v74 offset0:17 offset1:108
	s_wait_loadcnt 0x1
	v_mul_f64_e32 v[22:23], v[12:13], v[36:37]
	s_wait_dscnt 0x0
	v_mul_f64_e32 v[36:37], v[43:44], v[36:37]
	s_delay_alu instid0(VALU_DEP_2) | instskip(NEXT) | instid1(VALU_DEP_2)
	v_fma_f64 v[22:23], v[43:44], v[34:35], v[22:23]
	v_fma_f64 v[34:35], v[12:13], v[34:35], -v[36:37]
	s_wait_loadcnt 0x0
	v_mul_f64_e32 v[12:13], v[45:46], v[40:41]
	s_delay_alu instid0(VALU_DEP_1) | instskip(SKIP_1) | instid1(VALU_DEP_1)
	v_fma_f64 v[36:37], v[14:15], v[38:39], -v[12:13]
	v_mul_f64_e32 v[12:13], v[14:15], v[40:41]
	v_fma_f64 v[14:15], v[45:46], v[38:39], v[12:13]
	s_clause 0x1
	global_load_b128 v[38:41], v42, s[8:9] offset:144
	global_load_b128 v[43:46], v42, s[8:9] offset:128
	ds_load_2addr_b64 v[52:55], v77 offset0:51 offset1:142
	s_wait_loadcnt 0x1
	v_mul_f64_e32 v[12:13], v[10:11], v[40:41]
	s_wait_dscnt 0x0
	v_mul_f64_e32 v[40:41], v[54:55], v[40:41]
	s_delay_alu instid0(VALU_DEP_2) | instskip(NEXT) | instid1(VALU_DEP_2)
	v_fma_f64 v[12:13], v[54:55], v[38:39], v[12:13]
	v_fma_f64 v[38:39], v[10:11], v[38:39], -v[40:41]
	s_wait_loadcnt 0x0
	v_mul_f64_e32 v[10:11], v[8:9], v[45:46]
	v_mul_f64_e32 v[40:41], v[52:53], v[45:46]
	s_delay_alu instid0(VALU_DEP_2) | instskip(NEXT) | instid1(VALU_DEP_2)
	v_fma_f64 v[10:11], v[52:53], v[43:44], v[10:11]
	v_fma_f64 v[8:9], v[8:9], v[43:44], -v[40:41]
	s_clause 0x1
	global_load_b128 v[43:46], v42, s[8:9] offset:64
	global_load_b128 v[52:55], v42, s[8:9] offset:80
	ds_load_2addr_b64 v[63:66], v75 offset0:71 offset1:162
	v_add_f64_e32 v[96:97], v[36:37], v[8:9]
	s_wait_loadcnt_dscnt 0x100
	v_mul_f64_e32 v[40:41], v[63:64], v[45:46]
	s_delay_alu instid0(VALU_DEP_1) | instskip(SKIP_1) | instid1(VALU_DEP_1)
	v_fma_f64 v[40:41], v[4:5], v[43:44], -v[40:41]
	v_mul_f64_e32 v[4:5], v[4:5], v[45:46]
	v_fma_f64 v[4:5], v[63:64], v[43:44], v[4:5]
	s_wait_loadcnt 0x0
	v_mul_f64_e32 v[43:44], v[65:66], v[54:55]
	s_delay_alu instid0(VALU_DEP_1) | instskip(SKIP_1) | instid1(VALU_DEP_1)
	v_fma_f64 v[44:45], v[6:7], v[52:53], -v[43:44]
	v_mul_f64_e32 v[6:7], v[6:7], v[54:55]
	v_fma_f64 v[6:7], v[65:66], v[52:53], v[6:7]
	s_clause 0x1
	global_load_b128 v[52:55], v42, s[8:9] offset:96
	global_load_b128 v[63:66], v42, s[8:9] offset:112
	ds_load_2addr_b64 v[67:70], v76 offset0:125 offset1:216
	ds_load_b64 v[79:80], v72
	global_wb scope:SCOPE_SE
	s_wait_loadcnt_dscnt 0x0
	s_barrier_signal -1
	s_barrier_wait -1
	global_inv scope:SCOPE_SE
	v_mul_f64_e32 v[42:43], v[67:68], v[54:55]
	s_delay_alu instid0(VALU_DEP_1) | instskip(SKIP_1) | instid1(VALU_DEP_2)
	v_fma_f64 v[46:47], v[0:1], v[52:53], -v[42:43]
	v_mul_f64_e32 v[0:1], v[0:1], v[54:55]
	v_add_f64_e32 v[112:113], v[44:45], v[46:47]
	s_delay_alu instid0(VALU_DEP_2) | instskip(SKIP_2) | instid1(VALU_DEP_2)
	v_fma_f64 v[42:43], v[67:68], v[52:53], v[0:1]
	v_mul_f64_e32 v[0:1], v[69:70], v[65:66]
	v_add_f64_e64 v[52:53], v[16:17], -v[18:19]
	v_fma_f64 v[48:49], v[2:3], v[63:64], -v[0:1]
	v_mul_f64_e32 v[0:1], v[2:3], v[65:66]
	v_add_f64_e32 v[2:3], v[28:29], v[24:25]
	s_delay_alu instid0(VALU_DEP_4)
	v_mul_f64_e32 v[54:55], s[0:1], v[52:53]
	v_mul_f64_e32 v[84:85], s[20:21], v[52:53]
	v_add_f64_e32 v[104:105], v[40:41], v[48:49]
	v_fma_f64 v[0:1], v[69:70], v[63:64], v[0:1]
	v_add_f64_e64 v[63:64], v[26:27], -v[20:21]
	v_fma_f64 v[56:57], v[2:3], s[4:5], -v[54:55]
	v_fma_f64 v[54:55], v[2:3], s[4:5], v[54:55]
	s_delay_alu instid0(VALU_DEP_3) | instskip(NEXT) | instid1(VALU_DEP_3)
	v_mul_f64_e32 v[67:68], s[10:11], v[63:64]
	v_add_f64_e32 v[65:66], v[50:51], v[56:57]
	v_add_f64_e32 v[56:57], v[30:31], v[32:33]
	v_mul_f64_e32 v[86:87], s[14:15], v[63:64]
	v_mul_f64_e32 v[124:125], s[38:39], v[63:64]
	v_add_f64_e32 v[54:55], v[50:51], v[54:55]
	s_delay_alu instid0(VALU_DEP_4) | instskip(SKIP_1) | instid1(VALU_DEP_4)
	v_fma_f64 v[69:70], v[56:57], s[12:13], -v[67:68]
	v_fma_f64 v[67:68], v[56:57], s[12:13], v[67:68]
	v_fma_f64 v[126:127], v[56:57], s[18:19], -v[124:125]
	s_delay_alu instid0(VALU_DEP_3) | instskip(SKIP_4) | instid1(VALU_DEP_4)
	v_add_f64_e32 v[82:83], v[69:70], v[65:66]
	v_fma_f64 v[65:66], v[2:3], s[18:19], -v[84:85]
	v_fma_f64 v[69:70], v[56:57], s[16:17], -v[86:87]
	v_add_f64_e32 v[54:55], v[67:68], v[54:55]
	v_fma_f64 v[67:68], v[2:3], s[18:19], v[84:85]
	v_add_f64_e32 v[65:66], v[50:51], v[65:66]
	s_delay_alu instid0(VALU_DEP_2) | instskip(NEXT) | instid1(VALU_DEP_2)
	v_add_f64_e32 v[67:68], v[50:51], v[67:68]
	v_add_f64_e32 v[88:89], v[69:70], v[65:66]
	v_add_f64_e64 v[69:70], v[22:23], -v[12:13]
	v_add_f64_e32 v[65:66], v[34:35], v[38:39]
	s_delay_alu instid0(VALU_DEP_2) | instskip(NEXT) | instid1(VALU_DEP_1)
	v_mul_f64_e32 v[90:91], s[14:15], v[69:70]
	v_fma_f64 v[92:93], v[65:66], s[16:17], -v[90:91]
	s_delay_alu instid0(VALU_DEP_1) | instskip(SKIP_1) | instid1(VALU_DEP_1)
	v_add_f64_e32 v[82:83], v[92:93], v[82:83]
	v_mul_f64_e32 v[92:93], s[28:29], v[69:70]
	v_fma_f64 v[94:95], v[65:66], s[12:13], -v[92:93]
	s_delay_alu instid0(VALU_DEP_1) | instskip(SKIP_1) | instid1(VALU_DEP_1)
	v_add_f64_e32 v[88:89], v[94:95], v[88:89]
	v_add_f64_e64 v[94:95], v[14:15], -v[10:11]
	v_mul_f64_e32 v[98:99], s[26:27], v[94:95]
	s_delay_alu instid0(VALU_DEP_1) | instskip(NEXT) | instid1(VALU_DEP_1)
	v_fma_f64 v[100:101], v[96:97], s[24:25], -v[98:99]
	v_add_f64_e32 v[82:83], v[100:101], v[82:83]
	s_wait_alu 0xfffe
	v_mul_f64_e32 v[100:101], s[30:31], v[94:95]
	s_delay_alu instid0(VALU_DEP_1) | instskip(NEXT) | instid1(VALU_DEP_1)
	v_fma_f64 v[102:103], v[96:97], s[36:37], -v[100:101]
	v_add_f64_e32 v[88:89], v[102:103], v[88:89]
	v_add_f64_e64 v[102:103], v[4:5], -v[0:1]
	s_delay_alu instid0(VALU_DEP_1) | instskip(NEXT) | instid1(VALU_DEP_1)
	v_mul_f64_e32 v[106:107], s[38:39], v[102:103]
	v_fma_f64 v[108:109], v[104:105], s[18:19], -v[106:107]
	s_delay_alu instid0(VALU_DEP_1) | instskip(SKIP_1) | instid1(VALU_DEP_1)
	v_add_f64_e32 v[82:83], v[108:109], v[82:83]
	v_mul_f64_e32 v[108:109], s[0:1], v[102:103]
	v_fma_f64 v[110:111], v[104:105], s[4:5], -v[108:109]
	s_delay_alu instid0(VALU_DEP_1) | instskip(SKIP_1) | instid1(VALU_DEP_1)
	v_add_f64_e32 v[88:89], v[110:111], v[88:89]
	v_add_f64_e64 v[110:111], v[6:7], -v[42:43]
	v_mul_f64_e32 v[114:115], s[30:31], v[110:111]
	s_delay_alu instid0(VALU_DEP_1) | instskip(NEXT) | instid1(VALU_DEP_1)
	v_fma_f64 v[116:117], v[112:113], s[36:37], -v[114:115]
	v_add_f64_e32 v[82:83], v[116:117], v[82:83]
	v_mul_f64_e32 v[116:117], s[22:23], v[110:111]
	s_delay_alu instid0(VALU_DEP_1) | instskip(NEXT) | instid1(VALU_DEP_1)
	v_fma_f64 v[118:119], v[112:113], s[24:25], -v[116:117]
	v_add_f64_e32 v[88:89], v[118:119], v[88:89]
	v_mul_f64_e32 v[118:119], s[26:27], v[63:64]
	ds_store_2addr_b64 v146, v[82:83], v[88:89] offset0:14 offset1:21
	v_mul_f64_e32 v[81:82], s[10:11], v[52:53]
	v_fma_f64 v[120:121], v[56:57], s[24:25], -v[118:119]
	s_delay_alu instid0(VALU_DEP_2) | instskip(SKIP_1) | instid1(VALU_DEP_2)
	v_fma_f64 v[88:89], v[2:3], s[12:13], -v[81:82]
	v_fma_f64 v[81:82], v[2:3], s[12:13], v[81:82]
	v_add_f64_e32 v[88:89], v[50:51], v[88:89]
	s_delay_alu instid0(VALU_DEP_2) | instskip(NEXT) | instid1(VALU_DEP_2)
	v_add_f64_e32 v[81:82], v[50:51], v[81:82]
	v_add_f64_e32 v[88:89], v[120:121], v[88:89]
	v_mul_f64_e32 v[120:121], s[22:23], v[52:53]
	s_delay_alu instid0(VALU_DEP_1) | instskip(NEXT) | instid1(VALU_DEP_1)
	v_fma_f64 v[122:123], v[2:3], s[24:25], -v[120:121]
	v_add_f64_e32 v[122:123], v[50:51], v[122:123]
	s_delay_alu instid0(VALU_DEP_1) | instskip(SKIP_1) | instid1(VALU_DEP_1)
	v_add_f64_e32 v[122:123], v[126:127], v[122:123]
	v_mul_f64_e32 v[126:127], s[30:31], v[69:70]
	v_fma_f64 v[128:129], v[65:66], s[36:37], -v[126:127]
	s_delay_alu instid0(VALU_DEP_1) | instskip(SKIP_1) | instid1(VALU_DEP_1)
	v_add_f64_e32 v[88:89], v[128:129], v[88:89]
	v_mul_f64_e32 v[128:129], s[0:1], v[69:70]
	v_fma_f64 v[130:131], v[65:66], s[4:5], -v[128:129]
	;; [unrolled: 4-line block ×8, first 2 shown]
	s_delay_alu instid0(VALU_DEP_1)
	v_add_f64_e32 v[122:123], v[142:143], v[122:123]
	v_mul_f64_e32 v[142:143], s[30:31], v[63:64]
	ds_store_2addr_b64 v146, v[88:89], v[122:123] offset0:28 offset1:35
	v_mul_f64_e32 v[88:89], s[14:15], v[52:53]
	v_fma_f64 v[144:145], v[56:57], s[36:37], -v[142:143]
	v_fma_f64 v[142:143], v[56:57], s[36:37], v[142:143]
	v_mul_f64_e32 v[52:53], s[34:35], v[52:53]
	s_delay_alu instid0(VALU_DEP_4) | instskip(SKIP_1) | instid1(VALU_DEP_2)
	v_fma_f64 v[122:123], v[2:3], s[16:17], -v[88:89]
	v_fma_f64 v[88:89], v[2:3], s[16:17], v[88:89]
	v_add_f64_e32 v[122:123], v[50:51], v[122:123]
	s_delay_alu instid0(VALU_DEP_2) | instskip(NEXT) | instid1(VALU_DEP_2)
	v_add_f64_e32 v[88:89], v[50:51], v[88:89]
	v_add_f64_e32 v[122:123], v[144:145], v[122:123]
	s_delay_alu instid0(VALU_DEP_2) | instskip(SKIP_1) | instid1(VALU_DEP_1)
	v_add_f64_e32 v[88:89], v[142:143], v[88:89]
	v_mul_f64_e32 v[142:143], s[22:23], v[69:70]
	v_fma_f64 v[144:145], v[65:66], s[24:25], -v[142:143]
	v_fma_f64 v[142:143], v[65:66], s[24:25], v[142:143]
	s_delay_alu instid0(VALU_DEP_2) | instskip(NEXT) | instid1(VALU_DEP_2)
	v_add_f64_e32 v[122:123], v[144:145], v[122:123]
	v_add_f64_e32 v[88:89], v[142:143], v[88:89]
	v_mul_f64_e32 v[142:143], s[42:43], v[94:95]
	s_delay_alu instid0(VALU_DEP_1) | instskip(SKIP_1) | instid1(VALU_DEP_2)
	v_fma_f64 v[144:145], v[96:97], s[4:5], -v[142:143]
	v_fma_f64 v[142:143], v[96:97], s[4:5], v[142:143]
	v_add_f64_e32 v[122:123], v[144:145], v[122:123]
	s_delay_alu instid0(VALU_DEP_2) | instskip(SKIP_1) | instid1(VALU_DEP_1)
	v_add_f64_e32 v[88:89], v[142:143], v[88:89]
	v_mul_f64_e32 v[142:143], s[10:11], v[102:103]
	v_fma_f64 v[144:145], v[104:105], s[12:13], -v[142:143]
	v_fma_f64 v[142:143], v[104:105], s[12:13], v[142:143]
	s_delay_alu instid0(VALU_DEP_2) | instskip(NEXT) | instid1(VALU_DEP_2)
	v_add_f64_e32 v[122:123], v[144:145], v[122:123]
	v_add_f64_e32 v[88:89], v[142:143], v[88:89]
	v_mul_f64_e32 v[142:143], s[38:39], v[110:111]
	s_delay_alu instid0(VALU_DEP_1) | instskip(SKIP_1) | instid1(VALU_DEP_2)
	v_fma_f64 v[144:145], v[112:113], s[18:19], -v[142:143]
	v_fma_f64 v[142:143], v[112:113], s[18:19], v[142:143]
	v_add_f64_e32 v[122:123], v[144:145], v[122:123]
	s_delay_alu instid0(VALU_DEP_2) | instskip(SKIP_3) | instid1(VALU_DEP_2)
	v_add_f64_e32 v[88:89], v[142:143], v[88:89]
	ds_store_2addr_b64 v146, v[122:123], v[88:89] offset0:42 offset1:49
	v_fma_f64 v[88:89], v[56:57], s[24:25], v[118:119]
	v_fma_f64 v[118:119], v[56:57], s[18:19], v[124:125]
	v_add_f64_e32 v[81:82], v[88:89], v[81:82]
	v_fma_f64 v[88:89], v[2:3], s[24:25], v[120:121]
	s_delay_alu instid0(VALU_DEP_1) | instskip(NEXT) | instid1(VALU_DEP_1)
	v_add_f64_e32 v[88:89], v[50:51], v[88:89]
	v_add_f64_e32 v[88:89], v[118:119], v[88:89]
	v_fma_f64 v[118:119], v[65:66], s[36:37], v[126:127]
	s_delay_alu instid0(VALU_DEP_1) | instskip(SKIP_1) | instid1(VALU_DEP_1)
	v_add_f64_e32 v[81:82], v[118:119], v[81:82]
	v_fma_f64 v[118:119], v[65:66], s[4:5], v[128:129]
	v_add_f64_e32 v[88:89], v[118:119], v[88:89]
	v_fma_f64 v[118:119], v[96:97], s[18:19], v[130:131]
	s_delay_alu instid0(VALU_DEP_1) | instskip(SKIP_1) | instid1(VALU_DEP_1)
	v_add_f64_e32 v[81:82], v[118:119], v[81:82]
	v_fma_f64 v[118:119], v[96:97], s[16:17], v[132:133]
	;; [unrolled: 5-line block ×4, first 2 shown]
	v_add_f64_e32 v[88:89], v[118:119], v[88:89]
	ds_store_2addr_b64 v146, v[88:89], v[81:82] offset0:56 offset1:63
	v_fma_f64 v[81:82], v[56:57], s[16:17], v[86:87]
	s_delay_alu instid0(VALU_DEP_1) | instskip(SKIP_1) | instid1(VALU_DEP_1)
	v_add_f64_e32 v[67:68], v[81:82], v[67:68]
	v_fma_f64 v[81:82], v[65:66], s[16:17], v[90:91]
	v_add_f64_e32 v[54:55], v[81:82], v[54:55]
	v_fma_f64 v[81:82], v[65:66], s[12:13], v[92:93]
	s_delay_alu instid0(VALU_DEP_1) | instskip(SKIP_1) | instid1(VALU_DEP_1)
	v_add_f64_e32 v[67:68], v[81:82], v[67:68]
	v_fma_f64 v[81:82], v[96:97], s[24:25], v[98:99]
	v_add_f64_e32 v[54:55], v[81:82], v[54:55]
	;; [unrolled: 5-line block ×4, first 2 shown]
	v_fma_f64 v[81:82], v[112:113], s[24:25], v[116:117]
	s_delay_alu instid0(VALU_DEP_1) | instskip(SKIP_4) | instid1(VALU_DEP_3)
	v_add_f64_e32 v[67:68], v[81:82], v[67:68]
	ds_store_2addr_b64 v146, v[67:68], v[54:55] offset0:70 offset1:77
	v_mul_f64_e32 v[54:55], s[0:1], v[63:64]
	v_fma_f64 v[63:64], v[2:3], s[36:37], -v[52:53]
	v_fma_f64 v[2:3], v[2:3], s[36:37], v[52:53]
	v_fma_f64 v[67:68], v[56:57], s[4:5], -v[54:55]
	s_delay_alu instid0(VALU_DEP_3) | instskip(SKIP_1) | instid1(VALU_DEP_4)
	v_add_f64_e32 v[63:64], v[50:51], v[63:64]
	v_fma_f64 v[52:53], v[56:57], s[4:5], v[54:55]
	v_add_f64_e32 v[2:3], v[50:51], v[2:3]
	v_add_f64_e32 v[54:55], v[22:23], v[12:13]
	s_delay_alu instid0(VALU_DEP_4) | instskip(SKIP_1) | instid1(VALU_DEP_4)
	v_add_f64_e32 v[63:64], v[67:68], v[63:64]
	v_mul_f64_e32 v[67:68], s[20:21], v[69:70]
	v_add_f64_e32 v[2:3], v[52:53], v[2:3]
	s_delay_alu instid0(VALU_DEP_2) | instskip(NEXT) | instid1(VALU_DEP_1)
	v_fma_f64 v[69:70], v[65:66], s[18:19], -v[67:68]
	v_add_f64_e32 v[63:64], v[69:70], v[63:64]
	v_mul_f64_e32 v[69:70], s[10:11], v[94:95]
	s_delay_alu instid0(VALU_DEP_1) | instskip(NEXT) | instid1(VALU_DEP_1)
	v_fma_f64 v[81:82], v[96:97], s[12:13], -v[69:70]
	v_add_f64_e32 v[63:64], v[81:82], v[63:64]
	v_mul_f64_e32 v[81:82], s[22:23], v[102:103]
	s_delay_alu instid0(VALU_DEP_1) | instskip(NEXT) | instid1(VALU_DEP_1)
	;; [unrolled: 4-line block ×3, first 2 shown]
	v_fma_f64 v[85:86], v[112:113], s[16:17], -v[83:84]
	v_add_f64_e32 v[63:64], v[85:86], v[63:64]
	v_add_f64_e32 v[85:86], v[50:51], v[28:29]
	v_add_f64_e64 v[28:29], v[28:29], -v[24:25]
	s_delay_alu instid0(VALU_DEP_2) | instskip(SKIP_1) | instid1(VALU_DEP_2)
	v_add_f64_e32 v[85:86], v[85:86], v[30:31]
	v_add_f64_e64 v[30:31], v[30:31], -v[32:33]
	v_add_f64_e32 v[85:86], v[85:86], v[34:35]
	s_delay_alu instid0(VALU_DEP_2) | instskip(SKIP_1) | instid1(VALU_DEP_3)
	v_mul_f64_e32 v[50:51], s[0:1], v[30:31]
	v_mul_f64_e32 v[107:108], s[38:39], v[30:31]
	v_add_f64_e32 v[85:86], v[85:86], v[36:37]
	s_delay_alu instid0(VALU_DEP_1) | instskip(NEXT) | instid1(VALU_DEP_1)
	v_add_f64_e32 v[85:86], v[85:86], v[40:41]
	v_add_f64_e32 v[85:86], v[85:86], v[44:45]
	s_delay_alu instid0(VALU_DEP_1) | instskip(NEXT) | instid1(VALU_DEP_1)
	v_add_f64_e32 v[85:86], v[85:86], v[46:47]
	;; [unrolled: 3-line block ×3, first 2 shown]
	v_add_f64_e32 v[85:86], v[85:86], v[38:39]
	s_delay_alu instid0(VALU_DEP_1)
	v_add_f64_e32 v[85:86], v[85:86], v[32:33]
	v_add_f64_e64 v[32:33], v[34:35], -v[38:39]
	v_add_f64_e64 v[34:35], v[36:37], -v[8:9]
	;; [unrolled: 1-line block ×3, first 2 shown]
	v_add_f64_e32 v[46:47], v[79:80], v[16:17]
	v_add_f64_e64 v[38:39], v[40:41], -v[48:49]
	v_add_f64_e32 v[48:49], v[6:7], v[42:43]
	v_fma_f64 v[8:9], v[65:66], s[18:19], v[67:68]
	v_fma_f64 v[40:41], v[104:105], s[24:25], v[81:82]
	;; [unrolled: 1-line block ×3, first 2 shown]
	v_mul_f64_e32 v[83:84], s[14:15], v[30:31]
	v_add_f64_e32 v[85:86], v[85:86], v[24:25]
	v_fma_f64 v[24:25], v[96:97], s[12:13], v[69:70]
	v_mul_f64_e32 v[56:57], s[20:21], v[32:33]
	v_mul_f64_e32 v[65:66], s[10:11], v[34:35]
	v_add_f64_e32 v[46:47], v[46:47], v[26:27]
	v_add_f64_e32 v[26:27], v[26:27], v[20:21]
	v_add_f64_e32 v[2:3], v[8:9], v[2:3]
	ds_store_2addr_b64 v146, v[85:86], v[63:64] offset1:7
	v_add_f64_e32 v[63:64], v[14:15], v[10:11]
	v_add_f64_e32 v[46:47], v[46:47], v[22:23]
	v_fma_f64 v[52:53], v[26:27], s[4:5], v[50:51]
	v_fma_f64 v[85:86], v[26:27], s[16:17], v[83:84]
	v_add_f64_e32 v[2:3], v[24:25], v[2:3]
	v_fma_f64 v[109:110], v[26:27], s[18:19], v[107:108]
	v_add_f64_e32 v[46:47], v[46:47], v[14:15]
	s_delay_alu instid0(VALU_DEP_3) | instskip(SKIP_1) | instid1(VALU_DEP_3)
	v_add_f64_e32 v[2:3], v[40:41], v[2:3]
	v_mul_f64_e32 v[40:41], s[22:23], v[38:39]
	v_add_f64_e32 v[46:47], v[46:47], v[4:5]
	s_delay_alu instid0(VALU_DEP_3) | instskip(SKIP_1) | instid1(VALU_DEP_3)
	v_add_f64_e32 v[2:3], v[44:45], v[2:3]
	v_mul_f64_e32 v[44:45], s[14:15], v[36:37]
	v_add_f64_e32 v[46:47], v[46:47], v[6:7]
	ds_store_b64 v146, v[2:3] offset:672
	global_wb scope:SCOPE_SE
	s_wait_dscnt 0x0
	s_barrier_signal -1
	s_barrier_wait -1
	global_inv scope:SCOPE_SE
	v_add_f64_e32 v[6:7], v[46:47], v[42:43]
	v_add_f64_e32 v[42:43], v[16:17], v[18:19]
	v_mul_f64_e32 v[46:47], s[34:35], v[28:29]
	s_delay_alu instid0(VALU_DEP_1) | instskip(SKIP_1) | instid1(VALU_DEP_2)
	v_fma_f64 v[16:17], v[42:43], s[36:37], v[46:47]
	v_fma_f64 v[46:47], v[42:43], s[36:37], -v[46:47]
	v_add_f64_e32 v[16:17], v[79:80], v[16:17]
	s_delay_alu instid0(VALU_DEP_1)
	v_add_f64_e32 v[16:17], v[52:53], v[16:17]
	v_add_f64_e32 v[52:53], v[4:5], v[0:1]
	;; [unrolled: 1-line block ×3, first 2 shown]
	v_fma_f64 v[4:5], v[54:55], s[18:19], v[56:57]
	v_fma_f64 v[6:7], v[63:64], s[12:13], v[65:66]
	v_fma_f64 v[56:57], v[54:55], s[18:19], -v[56:57]
	s_delay_alu instid0(VALU_DEP_4) | instskip(NEXT) | instid1(VALU_DEP_4)
	v_add_f64_e32 v[0:1], v[0:1], v[10:11]
	v_add_f64_e32 v[4:5], v[4:5], v[16:17]
	s_delay_alu instid0(VALU_DEP_2) | instskip(NEXT) | instid1(VALU_DEP_2)
	v_add_f64_e32 v[0:1], v[0:1], v[12:13]
	v_add_f64_e32 v[4:5], v[6:7], v[4:5]
	v_fma_f64 v[6:7], v[52:53], s[24:25], v[40:41]
	v_fma_f64 v[40:41], v[52:53], s[24:25], -v[40:41]
	s_delay_alu instid0(VALU_DEP_4) | instskip(NEXT) | instid1(VALU_DEP_3)
	v_add_f64_e32 v[0:1], v[0:1], v[20:21]
	v_add_f64_e32 v[4:5], v[6:7], v[4:5]
	v_fma_f64 v[6:7], v[48:49], s[16:17], v[44:45]
	v_fma_f64 v[44:45], v[48:49], s[16:17], -v[44:45]
	s_delay_alu instid0(VALU_DEP_4) | instskip(NEXT) | instid1(VALU_DEP_3)
	v_add_f64_e32 v[69:70], v[0:1], v[18:19]
	v_add_f64_e32 v[67:68], v[6:7], v[4:5]
	ds_load_b64 v[24:25], v72
	ds_load_2addr_b64 v[0:3], v74 offset0:17 offset1:108
	ds_load_2addr_b64 v[16:19], v75 offset0:71 offset1:162
	;; [unrolled: 1-line block ×6, first 2 shown]
	global_wb scope:SCOPE_SE
	s_wait_dscnt 0x0
	s_barrier_signal -1
	s_barrier_wait -1
	global_inv scope:SCOPE_SE
	v_mul_f64_e32 v[74:75], s[10:11], v[30:31]
	ds_store_2addr_b64 v146, v[69:70], v[67:68] offset1:7
	v_mul_f64_e32 v[67:68], s[0:1], v[28:29]
	v_fma_f64 v[76:77], v[26:27], s[12:13], v[74:75]
	s_delay_alu instid0(VALU_DEP_2) | instskip(SKIP_1) | instid1(VALU_DEP_2)
	v_fma_f64 v[69:70], v[42:43], s[4:5], v[67:68]
	v_fma_f64 v[67:68], v[42:43], s[4:5], -v[67:68]
	v_add_f64_e32 v[69:70], v[79:80], v[69:70]
	s_delay_alu instid0(VALU_DEP_1) | instskip(SKIP_1) | instid1(VALU_DEP_1)
	v_add_f64_e32 v[69:70], v[76:77], v[69:70]
	v_mul_f64_e32 v[76:77], s[20:21], v[28:29]
	v_fma_f64 v[81:82], v[42:43], s[18:19], v[76:77]
	v_fma_f64 v[76:77], v[42:43], s[18:19], -v[76:77]
	s_delay_alu instid0(VALU_DEP_2) | instskip(NEXT) | instid1(VALU_DEP_1)
	v_add_f64_e32 v[81:82], v[79:80], v[81:82]
	v_add_f64_e32 v[81:82], v[85:86], v[81:82]
	v_mul_f64_e32 v[85:86], s[14:15], v[32:33]
	s_delay_alu instid0(VALU_DEP_1) | instskip(NEXT) | instid1(VALU_DEP_1)
	v_fma_f64 v[87:88], v[54:55], s[16:17], v[85:86]
	v_add_f64_e32 v[69:70], v[87:88], v[69:70]
	v_mul_f64_e32 v[87:88], s[28:29], v[32:33]
	s_delay_alu instid0(VALU_DEP_1) | instskip(NEXT) | instid1(VALU_DEP_1)
	v_fma_f64 v[89:90], v[54:55], s[12:13], v[87:88]
	;; [unrolled: 4-line block ×8, first 2 shown]
	v_add_f64_e32 v[81:82], v[101:102], v[81:82]
	v_mul_f64_e32 v[101:102], s[26:27], v[30:31]
	v_mul_f64_e32 v[30:31], s[30:31], v[30:31]
	ds_store_2addr_b64 v146, v[69:70], v[81:82] offset0:14 offset1:21
	v_mul_f64_e32 v[69:70], s[10:11], v[28:29]
	v_fma_f64 v[103:104], v[26:27], s[24:25], v[101:102]
	s_delay_alu instid0(VALU_DEP_2) | instskip(SKIP_1) | instid1(VALU_DEP_2)
	v_fma_f64 v[81:82], v[42:43], s[12:13], v[69:70]
	v_fma_f64 v[69:70], v[42:43], s[12:13], -v[69:70]
	v_add_f64_e32 v[81:82], v[79:80], v[81:82]
	s_delay_alu instid0(VALU_DEP_2) | instskip(NEXT) | instid1(VALU_DEP_2)
	v_add_f64_e32 v[69:70], v[79:80], v[69:70]
	v_add_f64_e32 v[81:82], v[103:104], v[81:82]
	v_mul_f64_e32 v[103:104], s[22:23], v[28:29]
	v_mul_f64_e32 v[28:29], s[14:15], v[28:29]
	s_delay_alu instid0(VALU_DEP_2) | instskip(NEXT) | instid1(VALU_DEP_1)
	v_fma_f64 v[105:106], v[42:43], s[24:25], v[103:104]
	v_add_f64_e32 v[105:106], v[79:80], v[105:106]
	s_delay_alu instid0(VALU_DEP_1) | instskip(SKIP_1) | instid1(VALU_DEP_1)
	v_add_f64_e32 v[105:106], v[109:110], v[105:106]
	v_mul_f64_e32 v[109:110], s[30:31], v[32:33]
	v_fma_f64 v[111:112], v[54:55], s[36:37], v[109:110]
	s_delay_alu instid0(VALU_DEP_1) | instskip(SKIP_2) | instid1(VALU_DEP_2)
	v_add_f64_e32 v[81:82], v[111:112], v[81:82]
	v_mul_f64_e32 v[111:112], s[0:1], v[32:33]
	v_mul_f64_e32 v[32:33], s[22:23], v[32:33]
	v_fma_f64 v[113:114], v[54:55], s[4:5], v[111:112]
	s_delay_alu instid0(VALU_DEP_1) | instskip(SKIP_1) | instid1(VALU_DEP_1)
	v_add_f64_e32 v[105:106], v[113:114], v[105:106]
	v_mul_f64_e32 v[113:114], s[20:21], v[34:35]
	v_fma_f64 v[115:116], v[63:64], s[18:19], v[113:114]
	s_delay_alu instid0(VALU_DEP_1) | instskip(SKIP_1) | instid1(VALU_DEP_1)
	v_add_f64_e32 v[81:82], v[115:116], v[81:82]
	v_mul_f64_e32 v[115:116], s[40:41], v[34:35]
	v_fma_f64 v[117:118], v[63:64], s[16:17], v[115:116]
	s_delay_alu instid0(VALU_DEP_1) | instskip(SKIP_1) | instid1(VALU_DEP_1)
	v_add_f64_e32 v[105:106], v[117:118], v[105:106]
	v_mul_f64_e32 v[117:118], s[40:41], v[38:39]
	v_fma_f64 v[119:120], v[52:53], s[16:17], v[117:118]
	s_delay_alu instid0(VALU_DEP_1) | instskip(SKIP_2) | instid1(VALU_DEP_2)
	v_add_f64_e32 v[81:82], v[119:120], v[81:82]
	v_mul_f64_e32 v[119:120], s[30:31], v[38:39]
	v_mul_f64_e32 v[38:39], s[10:11], v[38:39]
	v_fma_f64 v[121:122], v[52:53], s[36:37], v[119:120]
	s_delay_alu instid0(VALU_DEP_1) | instskip(SKIP_1) | instid1(VALU_DEP_1)
	v_add_f64_e32 v[105:106], v[121:122], v[105:106]
	v_mul_f64_e32 v[121:122], s[42:43], v[36:37]
	v_fma_f64 v[123:124], v[48:49], s[4:5], v[121:122]
	s_delay_alu instid0(VALU_DEP_1) | instskip(SKIP_2) | instid1(VALU_DEP_2)
	v_add_f64_e32 v[81:82], v[123:124], v[81:82]
	v_mul_f64_e32 v[123:124], s[10:11], v[36:37]
	v_mul_f64_e32 v[36:37], s[38:39], v[36:37]
	v_fma_f64 v[125:126], v[48:49], s[12:13], v[123:124]
	s_delay_alu instid0(VALU_DEP_1)
	v_add_f64_e32 v[105:106], v[125:126], v[105:106]
	ds_store_2addr_b64 v146, v[81:82], v[105:106] offset0:28 offset1:35
	v_fma_f64 v[81:82], v[42:43], s[24:25], -v[103:104]
	v_fma_f64 v[103:104], v[42:43], s[16:17], v[28:29]
	v_fma_f64 v[28:29], v[42:43], s[16:17], -v[28:29]
	v_fma_f64 v[42:43], v[26:27], s[4:5], -v[50:51]
	;; [unrolled: 1-line block ×6, first 2 shown]
	v_fma_f64 v[105:106], v[26:27], s[36:37], v[30:31]
	v_fma_f64 v[26:27], v[26:27], s[36:37], -v[30:31]
	v_add_f64_e32 v[30:31], v[79:80], v[46:47]
	v_add_f64_e32 v[46:47], v[79:80], v[67:68]
	;; [unrolled: 1-line block ×3, first 2 shown]
	v_fma_f64 v[107:108], v[54:55], s[24:25], v[32:33]
	v_fma_f64 v[32:33], v[54:55], s[24:25], -v[32:33]
	v_add_f64_e32 v[76:77], v[79:80], v[81:82]
	v_add_f64_e32 v[81:82], v[79:80], v[103:104]
	;; [unrolled: 1-line block ×3, first 2 shown]
	v_fma_f64 v[78:79], v[54:55], s[16:17], -v[85:86]
	v_fma_f64 v[85:86], v[54:55], s[12:13], -v[87:88]
	;; [unrolled: 1-line block ×4, first 2 shown]
	v_add_f64_e32 v[30:31], v[42:43], v[30:31]
	v_add_f64_e32 v[42:43], v[50:51], v[46:47]
	;; [unrolled: 1-line block ×4, first 2 shown]
	v_fma_f64 v[74:75], v[63:64], s[18:19], -v[113:114]
	v_fma_f64 v[69:70], v[63:64], s[36:37], -v[91:92]
	v_add_f64_e32 v[54:55], v[101:102], v[76:77]
	v_add_f64_e32 v[67:68], v[105:106], v[81:82]
	;; [unrolled: 1-line block ×3, first 2 shown]
	v_mul_f64_e32 v[28:29], s[42:43], v[34:35]
	v_fma_f64 v[34:35], v[63:64], s[12:13], -v[65:66]
	v_fma_f64 v[65:66], v[63:64], s[24:25], -v[89:90]
	;; [unrolled: 1-line block ×3, first 2 shown]
	v_fma_f64 v[82:83], v[52:53], s[12:13], v[38:39]
	v_fma_f64 v[38:39], v[52:53], s[12:13], -v[38:39]
	v_add_f64_e32 v[30:31], v[56:57], v[30:31]
	v_add_f64_e32 v[42:43], v[78:79], v[42:43]
	;; [unrolled: 1-line block ×4, first 2 shown]
	v_fma_f64 v[78:79], v[52:53], s[36:37], -v[119:120]
	v_add_f64_e32 v[56:57], v[107:108], v[67:68]
	v_add_f64_e32 v[26:27], v[32:33], v[26:27]
	v_fma_f64 v[80:81], v[63:64], s[4:5], v[28:29]
	v_fma_f64 v[28:29], v[63:64], s[4:5], -v[28:29]
	v_add_f64_e32 v[32:33], v[103:104], v[54:55]
	v_fma_f64 v[67:68], v[52:53], s[16:17], -v[117:118]
	v_fma_f64 v[54:55], v[52:53], s[18:19], -v[93:94]
	v_fma_f64 v[63:64], v[52:53], s[4:5], -v[95:96]
	v_fma_f64 v[52:53], v[48:49], s[24:25], -v[99:100]
	v_add_f64_e32 v[30:31], v[34:35], v[30:31]
	v_add_f64_e32 v[34:35], v[65:66], v[42:43]
	v_fma_f64 v[65:66], v[48:49], s[12:13], -v[123:124]
	v_add_f64_e32 v[42:43], v[74:75], v[50:51]
	v_add_f64_e32 v[50:51], v[80:81], v[56:57]
	;; [unrolled: 1-line block ×5, first 2 shown]
	v_fma_f64 v[46:47], v[48:49], s[36:37], -v[97:98]
	v_fma_f64 v[56:57], v[48:49], s[4:5], -v[121:122]
	v_fma_f64 v[69:70], v[48:49], s[18:19], v[36:37]
	v_fma_f64 v[36:37], v[48:49], s[18:19], -v[36:37]
	v_add_f64_e32 v[34:35], v[54:55], v[34:35]
	v_add_f64_e32 v[30:31], v[40:41], v[30:31]
	;; [unrolled: 1-line block ×14, first 2 shown]
	ds_store_2addr_b64 v146, v[40:41], v[26:27] offset0:42 offset1:49
	ds_store_2addr_b64 v146, v[28:29], v[38:39] offset0:56 offset1:63
	;; [unrolled: 1-line block ×3, first 2 shown]
	ds_store_b64 v146, v[30:31] offset:672
	global_wb scope:SCOPE_SE
	s_wait_dscnt 0x0
	s_barrier_signal -1
	s_barrier_wait -1
	global_inv scope:SCOPE_SE
	s_and_saveexec_b32 s33, vcc_lo
	s_cbranch_execz .LBB0_21
; %bb.20:
	v_mul_u32_u24_e32 v26, 12, v71
	v_add_nc_u32_e32 v34, 0x1000, v73
	v_add_nc_u32_e32 v35, 0x800, v73
	;; [unrolled: 1-line block ×4, first 2 shown]
	v_lshlrev_b32_e32 v30, 4, v26
	s_clause 0xb
	global_load_b128 v[38:41], v30, s[8:9] offset:1424
	global_load_b128 v[44:47], v30, s[8:9] offset:1440
	global_load_b128 v[48:51], v30, s[8:9] offset:1408
	global_load_b128 v[52:55], v30, s[8:9] offset:1456
	global_load_b128 v[63:66], v30, s[8:9] offset:1392
	global_load_b128 v[67:70], v30, s[8:9] offset:1472
	global_load_b128 v[74:77], v30, s[8:9] offset:1376
	global_load_b128 v[78:81], v30, s[8:9] offset:1488
	global_load_b128 v[26:29], v30, s[8:9] offset:1344
	global_load_b128 v[82:85], v30, s[8:9] offset:1360
	global_load_b128 v[86:89], v30, s[8:9] offset:1504
	global_load_b128 v[90:93], v30, s[8:9] offset:1520
	ds_load_2addr_b64 v[94:97], v73 offset0:91 offset1:182
	v_add_nc_u32_e32 v30, 0xc00, v73
	ds_load_2addr_b64 v[30:33], v30 offset0:71 offset1:162
	ds_load_2addr_b64 v[98:101], v34 offset0:125 offset1:216
	;; [unrolled: 1-line block ×5, first 2 shown]
	s_wait_loadcnt 0xb
	v_mul_f64_e32 v[34:35], v[18:19], v[40:41]
	s_wait_loadcnt 0xa
	v_mul_f64_e32 v[42:43], v[20:21], v[46:47]
	;; [unrolled: 2-line block ×5, first 2 shown]
	s_wait_dscnt 0x4
	v_mul_f64_e32 v[134:135], v[32:33], v[40:41]
	s_wait_dscnt 0x3
	v_mul_f64_e32 v[136:137], v[98:99], v[46:47]
	v_mul_f64_e32 v[50:51], v[30:31], v[50:51]
	s_wait_loadcnt 0x3
	v_mul_f64_e32 v[124:125], v[12:13], v[28:29]
	v_mul_f64_e32 v[128:129], v[94:95], v[28:29]
	s_wait_loadcnt 0x2
	v_mul_f64_e32 v[126:127], v[14:15], v[84:85]
	s_wait_loadcnt 0x1
	v_mul_f64_e32 v[130:131], v[4:5], v[88:89]
	v_mul_f64_e32 v[54:55], v[100:101], v[54:55]
	s_wait_dscnt 0x2
	v_mul_f64_e32 v[65:66], v[104:105], v[65:66]
	v_mul_f64_e32 v[84:85], v[96:97], v[84:85]
	s_wait_dscnt 0x0
	v_mul_f64_e32 v[88:89], v[110:111], v[88:89]
	ds_load_b64 v[40:41], v72
	v_mul_f64_e32 v[120:121], v[0:1], v[76:77]
	v_mul_f64_e32 v[76:77], v[102:103], v[76:77]
	;; [unrolled: 1-line block ×3, first 2 shown]
	s_wait_loadcnt 0x0
	v_mul_f64_e32 v[132:133], v[6:7], v[92:93]
	v_mul_f64_e32 v[118:119], v[8:9], v[69:70]
	;; [unrolled: 1-line block ×5, first 2 shown]
	v_fma_f64 v[36:37], v[32:33], v[38:39], v[34:35]
	v_fma_f64 v[34:35], v[98:99], v[44:45], v[42:43]
	;; [unrolled: 1-line block ×5, first 2 shown]
	v_fma_f64 v[38:39], v[18:19], v[38:39], -v[134:135]
	v_fma_f64 v[20:21], v[20:21], v[44:45], -v[136:137]
	;; [unrolled: 1-line block ×3, first 2 shown]
	v_fma_f64 v[94:95], v[94:95], v[26:27], v[124:125]
	v_fma_f64 v[98:99], v[12:13], v[26:27], -v[128:129]
	v_fma_f64 v[96:97], v[96:97], v[82:83], v[126:127]
	v_fma_f64 v[26:27], v[110:111], v[86:87], v[130:131]
	v_fma_f64 v[18:19], v[22:23], v[52:53], -v[54:55]
	v_fma_f64 v[22:23], v[2:3], v[63:64], -v[65:66]
	v_fma_f64 v[14:15], v[14:15], v[82:83], -v[84:85]
	v_fma_f64 v[2:3], v[4:5], v[86:87], -v[88:89]
	v_fma_f64 v[56:57], v[102:103], v[74:75], v[120:121]
	v_fma_f64 v[48:49], v[0:1], v[74:75], -v[76:77]
	v_fma_f64 v[28:29], v[108:109], v[78:79], v[122:123]
	v_fma_f64 v[12:13], v[112:113], v[90:91], v[132:133]
	;; [unrolled: 1-line block ×3, first 2 shown]
	v_fma_f64 v[16:17], v[8:9], v[67:68], -v[69:70]
	v_fma_f64 v[8:9], v[10:11], v[78:79], -v[80:81]
	;; [unrolled: 1-line block ×3, first 2 shown]
	v_add_f64_e32 v[4:5], v[36:37], v[34:35]
	v_add_f64_e64 v[67:68], v[36:37], -v[34:35]
	v_add_f64_e32 v[6:7], v[42:43], v[32:33]
	v_add_f64_e64 v[69:70], v[42:43], -v[32:33]
	v_add_f64_e64 v[79:80], v[38:39], -v[20:21]
	v_add_f64_e32 v[91:92], v[38:39], v[20:21]
	s_wait_dscnt 0x0
	v_add_f64_e32 v[50:51], v[40:41], v[94:95]
	v_add_f64_e32 v[54:55], v[24:25], v[98:99]
	;; [unrolled: 1-line block ×3, first 2 shown]
	v_add_f64_e64 v[75:76], v[96:97], -v[26:27]
	v_add_f64_e64 v[81:82], v[44:45], -v[18:19]
	;; [unrolled: 1-line block ×3, first 2 shown]
	v_add_f64_e32 v[104:105], v[14:15], v[2:3]
	v_add_f64_e64 v[73:74], v[56:57], -v[28:29]
	v_add_f64_e32 v[65:66], v[94:95], v[12:13]
	v_add_f64_e64 v[77:78], v[94:95], -v[12:13]
	;; [unrolled: 2-line block ×4, first 2 shown]
	v_add_f64_e64 v[89:90], v[98:99], -v[0:1]
	v_add_f64_e32 v[102:103], v[48:49], v[8:9]
	v_add_f64_e32 v[98:99], v[98:99], v[0:1]
	v_add_f64_e64 v[83:84], v[22:23], -v[16:17]
	v_add_f64_e32 v[93:94], v[44:45], v[18:19]
	v_add_f64_e32 v[100:101], v[22:23], v[16:17]
	v_mul_f64_e32 v[106:107], s[18:19], v[4:5]
	v_mul_f64_e32 v[174:175], s[24:25], v[4:5]
	;; [unrolled: 1-line block ×7, first 2 shown]
	v_add_f64_e32 v[50:51], v[96:97], v[50:51]
	v_add_f64_e32 v[14:15], v[14:15], v[54:55]
	v_mul_f64_e32 v[164:165], s[40:41], v[69:70]
	v_mul_f64_e32 v[134:135], s[18:19], v[63:64]
	;; [unrolled: 1-line block ×36, first 2 shown]
	v_add_f64_e32 v[50:51], v[56:57], v[50:51]
	v_add_f64_e32 v[14:15], v[48:49], v[14:15]
	v_mul_f64_e32 v[48:49], s[18:19], v[65:66]
	v_mul_f64_e32 v[65:66], s[36:37], v[65:66]
	;; [unrolled: 1-line block ×3, first 2 shown]
	v_fma_f64 v[212:213], v[87:88], s[20:21], v[134:135]
	v_mul_f64_e32 v[63:64], s[4:5], v[63:64]
	v_fma_f64 v[200:201], v[87:88], s[34:35], v[54:55]
	v_fma_f64 v[206:207], v[104:105], s[36:37], v[122:123]
	;; [unrolled: 1-line block ×14, first 2 shown]
	v_fma_f64 v[184:185], v[98:99], s[18:19], -v[184:185]
	v_fma_f64 v[124:125], v[98:99], s[16:17], -v[124:125]
	v_fma_f64 v[228:229], v[98:99], s[12:13], v[172:173]
	v_fma_f64 v[172:173], v[98:99], s[12:13], -v[172:173]
	v_fma_f64 v[220:221], v[98:99], s[24:25], v[148:149]
	v_fma_f64 v[250:251], v[98:99], s[36:37], v[77:78]
	v_fma_f64 v[77:78], v[98:99], s[36:37], -v[77:78]
	v_fma_f64 v[198:199], v[85:86], s[26:27], v[95:96]
	v_fma_f64 v[95:96], v[85:86], s[22:23], v[95:96]
	;; [unrolled: 1-line block ×10, first 2 shown]
	v_add_f64_e32 v[46:47], v[46:47], v[50:51]
	v_add_f64_e32 v[14:15], v[22:23], v[14:15]
	v_fma_f64 v[50:51], v[87:88], s[38:39], v[134:135]
	v_fma_f64 v[22:23], v[89:90], s[22:23], v[136:137]
	v_fma_f64 v[134:135], v[102:103], s[4:5], -v[144:145]
	v_fma_f64 v[144:145], v[98:99], s[24:25], -v[148:149]
	v_fma_f64 v[234:235], v[89:90], s[38:39], v[48:49]
	v_fma_f64 v[48:49], v[89:90], s[20:21], v[48:49]
	;; [unrolled: 1-line block ×4, first 2 shown]
	v_fma_f64 v[136:137], v[104:105], s[18:19], -v[146:147]
	v_fma_f64 v[146:147], v[85:86], s[34:35], v[156:157]
	v_fma_f64 v[148:149], v[87:88], s[22:23], v[158:159]
	;; [unrolled: 1-line block ×6, first 2 shown]
	v_add_f64_e32 v[112:113], v[40:41], v[112:113]
	v_add_f64_e32 v[214:215], v[40:41], v[214:215]
	;; [unrolled: 1-line block ×5, first 2 shown]
	v_fma_f64 v[238:239], v[104:105], s[16:17], v[182:183]
	v_fma_f64 v[182:183], v[104:105], s[16:17], -v[182:183]
	v_add_f64_e32 v[184:185], v[24:25], v[184:185]
	v_fma_f64 v[122:123], v[104:105], s[36:37], -v[122:123]
	v_fma_f64 v[226:227], v[104:105], s[24:25], v[170:171]
	v_fma_f64 v[170:171], v[104:105], s[24:25], -v[170:171]
	v_add_f64_e32 v[202:203], v[40:41], v[202:203]
	v_add_f64_e32 v[172:173], v[24:25], v[172:173]
	;; [unrolled: 1-line block ×6, first 2 shown]
	v_fma_f64 v[204:205], v[102:103], s[24:25], v[120:121]
	v_fma_f64 v[120:121], v[102:103], s[24:25], -v[120:121]
	v_fma_f64 v[224:225], v[102:103], s[36:37], v[168:169]
	v_fma_f64 v[168:169], v[102:103], s[36:37], -v[168:169]
	v_add_f64_e32 v[42:43], v[42:43], v[46:47]
	v_add_f64_e32 v[14:15], v[44:45], v[14:15]
	v_fma_f64 v[44:45], v[98:99], s[4:5], v[196:197]
	v_fma_f64 v[196:197], v[98:99], s[4:5], -v[196:197]
	v_fma_f64 v[46:47], v[104:105], s[12:13], v[194:195]
	v_fma_f64 v[194:195], v[104:105], s[12:13], -v[194:195]
	v_fma_f64 v[97:98], v[85:86], s[38:39], v[52:53]
	v_fma_f64 v[52:53], v[85:86], s[20:21], v[52:53]
	v_add_f64_e32 v[85:86], v[24:25], v[208:209]
	v_add_f64_e32 v[22:23], v[40:41], v[22:23]
	;; [unrolled: 1-line block ×4, first 2 shown]
	v_fma_f64 v[208:209], v[87:88], s[42:43], v[63:64]
	v_fma_f64 v[63:64], v[87:88], s[0:1], v[63:64]
	v_add_f64_e32 v[87:88], v[24:25], v[124:125]
	v_add_f64_e32 v[234:235], v[40:41], v[234:235]
	;; [unrolled: 1-line block ×4, first 2 shown]
	v_fma_f64 v[236:237], v[102:103], s[12:13], v[180:181]
	v_fma_f64 v[180:181], v[102:103], s[12:13], -v[180:181]
	v_fma_f64 v[89:90], v[102:103], s[16:17], v[192:193]
	v_fma_f64 v[192:193], v[102:103], s[16:17], -v[192:193]
	;; [unrolled: 2-line block ×4, first 2 shown]
	v_add_f64_e32 v[250:251], v[24:25], v[250:251]
	v_mul_f64_e32 v[104:105], s[36:37], v[10:11]
	v_add_f64_e32 v[54:55], v[54:55], v[112:113]
	v_add_f64_e32 v[212:213], v[212:213], v[214:215]
	v_mul_f64_e32 v[214:215], s[26:27], v[71:72]
	v_add_f64_e32 v[148:149], v[148:149], v[222:223]
	v_add_f64_e32 v[158:159], v[158:159], v[160:161]
	v_add_f64_e32 v[188:189], v[188:189], v[190:191]
	v_add_f64_e32 v[182:183], v[182:183], v[184:185]
	v_mul_f64_e32 v[142:143], s[40:41], v[71:72]
	v_mul_f64_e32 v[154:155], s[18:19], v[10:11]
	v_mul_f64_e32 v[166:167], s[20:21], v[71:72]
	v_add_f64_e32 v[36:37], v[36:37], v[42:43]
	v_add_f64_e32 v[14:15], v[38:39], v[14:15]
	;; [unrolled: 1-line block ×5, first 2 shown]
	v_mul_f64_e32 v[38:39], s[30:31], v[71:72]
	v_add_f64_e32 v[200:201], v[200:201], v[202:203]
	v_mul_f64_e32 v[71:72], s[10:11], v[71:72]
	v_add_f64_e32 v[85:86], v[206:207], v[85:86]
	;; [unrolled: 2-line block ×3, first 2 shown]
	v_add_f64_e32 v[136:137], v[136:137], v[144:145]
	v_add_f64_e32 v[48:49], v[56:57], v[48:49]
	v_mul_f64_e32 v[10:11], s[12:13], v[10:11]
	v_add_f64_e32 v[87:88], v[122:123], v[87:88]
	v_add_f64_e32 v[170:171], v[170:171], v[172:173]
	;; [unrolled: 1-line block ×9, first 2 shown]
	v_mul_f64_e32 v[202:203], s[18:19], v[6:7]
	v_mul_f64_e32 v[122:123], s[38:39], v[69:70]
	v_fma_f64 v[144:145], v[83:84], s[0:1], v[110:111]
	v_fma_f64 v[110:111], v[83:84], s[42:43], v[110:111]
	v_mul_f64_e32 v[42:43], s[0:1], v[69:70]
	v_add_f64_e32 v[54:55], v[95:96], v[54:55]
	v_mul_f64_e32 v[6:7], s[24:25], v[6:7]
	v_fma_f64 v[172:173], v[83:84], s[14:15], v[130:131]
	v_fma_f64 v[130:131], v[83:84], s[40:41], v[130:131]
	v_add_f64_e32 v[95:96], v[210:211], v[212:213]
	v_mul_f64_e32 v[140:141], s[30:31], v[69:70]
	v_mul_f64_e32 v[69:70], s[22:23], v[69:70]
	v_fma_f64 v[56:57], v[100:101], s[16:17], v[142:143]
	v_fma_f64 v[142:143], v[100:101], s[16:17], -v[142:143]
	v_fma_f64 v[248:249], v[100:101], s[18:19], v[166:167]
	v_add_f64_e32 v[34:35], v[34:35], v[36:37]
	v_add_f64_e32 v[14:15], v[20:21], v[14:15]
	;; [unrolled: 1-line block ×4, first 2 shown]
	v_fma_f64 v[36:37], v[100:101], s[4:5], v[118:119]
	v_fma_f64 v[63:64], v[100:101], s[36:37], v[38:39]
	v_fma_f64 v[38:39], v[100:101], s[36:37], -v[38:39]
	v_fma_f64 v[118:119], v[100:101], s[4:5], -v[118:119]
	v_add_f64_e32 v[85:86], v[204:205], v[85:86]
	v_fma_f64 v[46:47], v[83:84], s[38:39], v[154:155]
	v_add_f64_e32 v[22:23], v[132:133], v[22:23]
	v_add_f64_e32 v[132:133], v[134:135], v[136:137]
	;; [unrolled: 1-line block ×7, first 2 shown]
	v_fma_f64 v[154:155], v[83:84], s[20:21], v[154:155]
	v_fma_f64 v[166:167], v[100:101], s[18:19], -v[166:167]
	v_add_f64_e32 v[87:88], v[120:121], v[87:88]
	v_add_f64_e32 v[168:169], v[168:169], v[170:171]
	;; [unrolled: 1-line block ×8, first 2 shown]
	v_mul_f64_e32 v[77:78], s[36:37], v[4:5]
	v_mul_f64_e32 v[112:113], s[30:31], v[67:68]
	v_fma_f64 v[50:51], v[81:82], s[28:29], v[108:109]
	v_fma_f64 v[228:229], v[93:94], s[12:13], v[116:117]
	;; [unrolled: 1-line block ×4, first 2 shown]
	v_add_f64_e32 v[54:55], v[110:111], v[54:55]
	v_mul_f64_e32 v[65:66], s[22:23], v[67:68]
	v_mul_f64_e32 v[150:151], s[4:5], v[4:5]
	;; [unrolled: 1-line block ×3, first 2 shown]
	v_fma_f64 v[160:161], v[81:82], s[34:35], v[128:129]
	v_add_f64_e32 v[32:33], v[32:33], v[34:35]
	v_add_f64_e32 v[14:15], v[18:19], v[14:15]
	;; [unrolled: 1-line block ×4, first 2 shown]
	v_fma_f64 v[34:35], v[83:84], s[34:35], v[104:105]
	v_fma_f64 v[75:76], v[83:84], s[30:31], v[104:105]
	;; [unrolled: 1-line block ×5, first 2 shown]
	v_fma_f64 v[214:215], v[100:101], s[24:25], -v[214:215]
	v_add_f64_e32 v[156:157], v[192:193], v[194:195]
	v_fma_f64 v[250:251], v[83:84], s[28:29], v[10:11]
	v_fma_f64 v[10:11], v[83:84], s[10:11], v[10:11]
	;; [unrolled: 1-line block ×3, first 2 shown]
	v_fma_f64 v[71:72], v[100:101], s[12:13], -v[71:72]
	v_add_f64_e32 v[99:100], v[198:199], v[200:201]
	v_add_f64_e32 v[44:45], v[89:90], v[44:45]
	;; [unrolled: 1-line block ×3, first 2 shown]
	v_fma_f64 v[97:98], v[93:94], s[18:19], v[122:123]
	v_fma_f64 v[122:123], v[93:94], s[18:19], -v[122:123]
	v_add_f64_e32 v[36:37], v[36:37], v[85:86]
	v_add_f64_e32 v[38:39], v[38:39], v[158:159]
	v_fma_f64 v[128:129], v[81:82], s[30:31], v[128:129]
	v_fma_f64 v[246:247], v[81:82], s[14:15], v[152:153]
	;; [unrolled: 1-line block ×4, first 2 shown]
	v_fma_f64 v[164:165], v[93:94], s[16:17], -v[164:165]
	v_add_f64_e32 v[85:86], v[118:119], v[87:88]
	v_add_f64_e32 v[87:88], v[172:173], v[95:96]
	;; [unrolled: 1-line block ×3, first 2 shown]
	v_mul_f64_e32 v[114:115], s[38:39], v[67:68]
	v_mul_f64_e32 v[126:127], s[12:13], v[4:5]
	;; [unrolled: 1-line block ×4, first 2 shown]
	v_fma_f64 v[116:117], v[93:94], s[12:13], -v[116:117]
	v_fma_f64 v[240:241], v[93:94], s[36:37], v[140:141]
	v_fma_f64 v[140:141], v[93:94], s[36:37], -v[140:141]
	v_fma_f64 v[182:183], v[93:94], s[24:25], v[69:70]
	v_add_f64_e32 v[30:31], v[30:31], v[32:33]
	v_add_f64_e32 v[14:15], v[16:17], v[14:15]
	;; [unrolled: 1-line block ×4, first 2 shown]
	v_fma_f64 v[124:125], v[81:82], s[38:39], v[202:203]
	v_add_f64_e32 v[48:49], v[75:76], v[48:49]
	v_fma_f64 v[32:33], v[93:94], s[4:5], v[42:43]
	v_fma_f64 v[42:43], v[93:94], s[4:5], -v[42:43]
	v_add_f64_e32 v[75:76], v[206:207], v[148:149]
	v_fma_f64 v[24:25], v[81:82], s[42:43], v[176:177]
	v_add_f64_e32 v[110:111], v[214:215], v[156:157]
	v_fma_f64 v[73:74], v[81:82], s[20:21], v[202:203]
	v_fma_f64 v[176:177], v[81:82], s[26:27], v[6:7]
	;; [unrolled: 1-line block ×3, first 2 shown]
	v_fma_f64 v[69:70], v[93:94], s[24:25], -v[69:70]
	v_add_f64_e32 v[81:82], v[144:145], v[99:100]
	v_add_f64_e32 v[99:100], v[154:155], v[146:147]
	;; [unrolled: 1-line block ×7, first 2 shown]
	v_mul_f64_e32 v[67:68], s[14:15], v[67:68]
	v_add_f64_e32 v[34:35], v[34:35], v[170:171]
	v_add_f64_e32 v[63:64], v[63:64], v[178:179]
	;; [unrolled: 1-line block ×6, first 2 shown]
	v_fma_f64 v[220:221], v[79:80], s[20:21], v[106:107]
	v_fma_f64 v[106:107], v[79:80], s[38:39], v[106:107]
	;; [unrolled: 1-line block ×3, first 2 shown]
	v_fma_f64 v[112:113], v[91:92], s[36:37], -v[112:113]
	v_fma_f64 v[184:185], v[79:80], s[0:1], v[150:151]
	v_fma_f64 v[190:191], v[91:92], s[4:5], v[162:163]
	;; [unrolled: 1-line block ×3, first 2 shown]
	v_fma_f64 v[162:163], v[91:92], s[4:5], -v[162:163]
	v_fma_f64 v[222:223], v[91:92], s[18:19], v[114:115]
	v_add_f64_e32 v[28:29], v[28:29], v[30:31]
	v_add_f64_e32 v[8:9], v[8:9], v[14:15]
	;; [unrolled: 1-line block ×4, first 2 shown]
	v_fma_f64 v[83:84], v[79:80], s[34:35], v[77:78]
	v_fma_f64 v[77:78], v[79:80], s[30:31], v[77:78]
	v_add_f64_e32 v[18:19], v[228:229], v[36:37]
	v_add_f64_e32 v[36:37], v[108:109], v[54:55]
	;; [unrolled: 1-line block ×5, first 2 shown]
	v_fma_f64 v[71:72], v[91:92], s[24:25], v[65:66]
	v_fma_f64 v[30:31], v[79:80], s[22:23], v[174:175]
	v_fma_f64 v[65:66], v[91:92], s[24:25], -v[65:66]
	v_add_f64_e32 v[38:39], v[42:43], v[38:39]
	v_add_f64_e32 v[54:55], v[160:161], v[87:88]
	;; [unrolled: 1-line block ×4, first 2 shown]
	v_fma_f64 v[20:21], v[79:80], s[28:29], v[126:127]
	v_fma_f64 v[234:235], v[91:92], s[12:13], v[138:139]
	v_fma_f64 v[126:127], v[79:80], s[10:11], v[126:127]
	v_fma_f64 v[138:139], v[91:92], s[12:13], -v[138:139]
	v_fma_f64 v[40:41], v[79:80], s[26:27], v[174:175]
	v_fma_f64 v[120:121], v[79:80], s[40:41], v[4:5]
	;; [unrolled: 1-line block ×3, first 2 shown]
	v_add_f64_e32 v[4:5], v[50:51], v[81:82]
	v_add_f64_e32 v[22:23], v[128:129], v[22:23]
	;; [unrolled: 1-line block ×3, first 2 shown]
	v_fma_f64 v[114:115], v[91:92], s[18:19], -v[114:115]
	v_add_f64_e32 v[50:51], v[116:117], v[85:86]
	v_add_f64_e32 v[56:57], v[240:241], v[56:57]
	;; [unrolled: 1-line block ×4, first 2 shown]
	v_fma_f64 v[130:131], v[91:92], s[16:17], v[67:68]
	v_fma_f64 v[67:68], v[91:92], s[16:17], -v[67:68]
	v_add_f64_e32 v[91:92], v[24:25], v[34:35]
	v_add_f64_e32 v[63:64], v[32:33], v[63:64]
	;; [unrolled: 1-line block ×10, first 2 shown]
	v_mul_lo_u32 v2, s3, v60
	v_mul_lo_u32 v3, s2, v61
	v_mad_co_u64_u32 v[60:61], null, s2, v60, 0
	v_add_f64_e32 v[8:9], v[106:107], v[36:37]
	v_add_f64_e32 v[36:37], v[77:78], v[52:53]
	;; [unrolled: 1-line block ×7, first 2 shown]
	v_add3_u32 v61, v61, v3, v2
	v_add_f64_e32 v[2:3], v[222:223], v[18:19]
	v_add_f64_e32 v[16:17], v[20:21], v[54:55]
	v_lshlrev_b64_e32 v[54:55], 4, v[58:59]
	v_add_f64_e32 v[4:5], v[220:221], v[4:5]
	v_add_f64_e32 v[20:21], v[126:127], v[22:23]
	;; [unrolled: 1-line block ×9, first 2 shown]
	v_mov_b32_e32 v63, 0
	v_add_f64_e32 v[44:45], v[83:84], v[73:74]
	v_add_f64_e32 v[42:43], v[103:104], v[93:94]
	;; [unrolled: 1-line block ×8, first 2 shown]
	v_lshlrev_b64_e32 v[0:1], 4, v[60:61]
	s_delay_alu instid0(VALU_DEP_1) | instskip(SKIP_1) | instid1(VALU_DEP_2)
	v_add_co_u32 v56, vcc_lo, s6, v0
	s_wait_alu 0xfffd
	v_add_co_ci_u32_e32 v57, vcc_lo, s7, v1, vcc_lo
	v_lshlrev_b64_e32 v[0:1], 4, v[62:63]
	s_delay_alu instid0(VALU_DEP_3) | instskip(SKIP_1) | instid1(VALU_DEP_3)
	v_add_co_u32 v54, vcc_lo, v56, v54
	s_wait_alu 0xfffd
	v_add_co_ci_u32_e32 v55, vcc_lo, v57, v55, vcc_lo
	s_delay_alu instid0(VALU_DEP_2) | instskip(SKIP_1) | instid1(VALU_DEP_2)
	v_add_co_u32 v0, vcc_lo, v54, v0
	s_wait_alu 0xfffd
	v_add_co_ci_u32_e32 v1, vcc_lo, v55, v1, vcc_lo
	s_clause 0xc
	global_store_b128 v[0:1], v[34:37], off offset:2912
	global_store_b128 v[0:1], v[30:33], off offset:4368
	;; [unrolled: 1-line block ×10, first 2 shown]
	global_store_b128 v[0:1], v[10:13], off
	global_store_b128 v[0:1], v[50:53], off offset:1456
	global_store_b128 v[0:1], v[46:49], off offset:17472
.LBB0_21:
	s_nop 0
	s_sendmsg sendmsg(MSG_DEALLOC_VGPRS)
	s_endpgm
	.section	.rodata,"a",@progbits
	.p2align	6, 0x0
	.amdhsa_kernel fft_rtc_fwd_len1183_factors_7_13_13_wgs_182_tpt_91_halfLds_dp_op_CI_CI_unitstride_sbrr_dirReg
		.amdhsa_group_segment_fixed_size 0
		.amdhsa_private_segment_fixed_size 0
		.amdhsa_kernarg_size 104
		.amdhsa_user_sgpr_count 2
		.amdhsa_user_sgpr_dispatch_ptr 0
		.amdhsa_user_sgpr_queue_ptr 0
		.amdhsa_user_sgpr_kernarg_segment_ptr 1
		.amdhsa_user_sgpr_dispatch_id 0
		.amdhsa_user_sgpr_private_segment_size 0
		.amdhsa_wavefront_size32 1
		.amdhsa_uses_dynamic_stack 0
		.amdhsa_enable_private_segment 0
		.amdhsa_system_sgpr_workgroup_id_x 1
		.amdhsa_system_sgpr_workgroup_id_y 0
		.amdhsa_system_sgpr_workgroup_id_z 0
		.amdhsa_system_sgpr_workgroup_info 0
		.amdhsa_system_vgpr_workitem_id 0
		.amdhsa_next_free_vgpr 252
		.amdhsa_next_free_sgpr 44
		.amdhsa_reserve_vcc 1
		.amdhsa_float_round_mode_32 0
		.amdhsa_float_round_mode_16_64 0
		.amdhsa_float_denorm_mode_32 3
		.amdhsa_float_denorm_mode_16_64 3
		.amdhsa_fp16_overflow 0
		.amdhsa_workgroup_processor_mode 1
		.amdhsa_memory_ordered 1
		.amdhsa_forward_progress 0
		.amdhsa_round_robin_scheduling 0
		.amdhsa_exception_fp_ieee_invalid_op 0
		.amdhsa_exception_fp_denorm_src 0
		.amdhsa_exception_fp_ieee_div_zero 0
		.amdhsa_exception_fp_ieee_overflow 0
		.amdhsa_exception_fp_ieee_underflow 0
		.amdhsa_exception_fp_ieee_inexact 0
		.amdhsa_exception_int_div_zero 0
	.end_amdhsa_kernel
	.text
.Lfunc_end0:
	.size	fft_rtc_fwd_len1183_factors_7_13_13_wgs_182_tpt_91_halfLds_dp_op_CI_CI_unitstride_sbrr_dirReg, .Lfunc_end0-fft_rtc_fwd_len1183_factors_7_13_13_wgs_182_tpt_91_halfLds_dp_op_CI_CI_unitstride_sbrr_dirReg
                                        ; -- End function
	.section	.AMDGPU.csdata,"",@progbits
; Kernel info:
; codeLenInByte = 10624
; NumSgprs: 46
; NumVgprs: 252
; ScratchSize: 0
; MemoryBound: 1
; FloatMode: 240
; IeeeMode: 1
; LDSByteSize: 0 bytes/workgroup (compile time only)
; SGPRBlocks: 5
; VGPRBlocks: 31
; NumSGPRsForWavesPerEU: 46
; NumVGPRsForWavesPerEU: 252
; Occupancy: 5
; WaveLimiterHint : 1
; COMPUTE_PGM_RSRC2:SCRATCH_EN: 0
; COMPUTE_PGM_RSRC2:USER_SGPR: 2
; COMPUTE_PGM_RSRC2:TRAP_HANDLER: 0
; COMPUTE_PGM_RSRC2:TGID_X_EN: 1
; COMPUTE_PGM_RSRC2:TGID_Y_EN: 0
; COMPUTE_PGM_RSRC2:TGID_Z_EN: 0
; COMPUTE_PGM_RSRC2:TIDIG_COMP_CNT: 0
	.text
	.p2alignl 7, 3214868480
	.fill 96, 4, 3214868480
	.type	__hip_cuid_37133094c76fd676,@object ; @__hip_cuid_37133094c76fd676
	.section	.bss,"aw",@nobits
	.globl	__hip_cuid_37133094c76fd676
__hip_cuid_37133094c76fd676:
	.byte	0                               ; 0x0
	.size	__hip_cuid_37133094c76fd676, 1

	.ident	"AMD clang version 19.0.0git (https://github.com/RadeonOpenCompute/llvm-project roc-6.4.0 25133 c7fe45cf4b819c5991fe208aaa96edf142730f1d)"
	.section	".note.GNU-stack","",@progbits
	.addrsig
	.addrsig_sym __hip_cuid_37133094c76fd676
	.amdgpu_metadata
---
amdhsa.kernels:
  - .args:
      - .actual_access:  read_only
        .address_space:  global
        .offset:         0
        .size:           8
        .value_kind:     global_buffer
      - .offset:         8
        .size:           8
        .value_kind:     by_value
      - .actual_access:  read_only
        .address_space:  global
        .offset:         16
        .size:           8
        .value_kind:     global_buffer
      - .actual_access:  read_only
        .address_space:  global
        .offset:         24
        .size:           8
        .value_kind:     global_buffer
      - .actual_access:  read_only
        .address_space:  global
        .offset:         32
        .size:           8
        .value_kind:     global_buffer
      - .offset:         40
        .size:           8
        .value_kind:     by_value
      - .actual_access:  read_only
        .address_space:  global
        .offset:         48
        .size:           8
        .value_kind:     global_buffer
      - .actual_access:  read_only
        .address_space:  global
        .offset:         56
        .size:           8
        .value_kind:     global_buffer
      - .offset:         64
        .size:           4
        .value_kind:     by_value
      - .actual_access:  read_only
        .address_space:  global
        .offset:         72
        .size:           8
        .value_kind:     global_buffer
      - .actual_access:  read_only
        .address_space:  global
        .offset:         80
        .size:           8
        .value_kind:     global_buffer
      - .actual_access:  read_only
        .address_space:  global
        .offset:         88
        .size:           8
        .value_kind:     global_buffer
      - .actual_access:  write_only
        .address_space:  global
        .offset:         96
        .size:           8
        .value_kind:     global_buffer
    .group_segment_fixed_size: 0
    .kernarg_segment_align: 8
    .kernarg_segment_size: 104
    .language:       OpenCL C
    .language_version:
      - 2
      - 0
    .max_flat_workgroup_size: 182
    .name:           fft_rtc_fwd_len1183_factors_7_13_13_wgs_182_tpt_91_halfLds_dp_op_CI_CI_unitstride_sbrr_dirReg
    .private_segment_fixed_size: 0
    .sgpr_count:     46
    .sgpr_spill_count: 0
    .symbol:         fft_rtc_fwd_len1183_factors_7_13_13_wgs_182_tpt_91_halfLds_dp_op_CI_CI_unitstride_sbrr_dirReg.kd
    .uniform_work_group_size: 1
    .uses_dynamic_stack: false
    .vgpr_count:     252
    .vgpr_spill_count: 0
    .wavefront_size: 32
    .workgroup_processor_mode: 1
amdhsa.target:   amdgcn-amd-amdhsa--gfx1201
amdhsa.version:
  - 1
  - 2
...

	.end_amdgpu_metadata
